;; amdgpu-corpus repo=ROCm/rocFFT kind=compiled arch=gfx1100 opt=O3
	.text
	.amdgcn_target "amdgcn-amd-amdhsa--gfx1100"
	.amdhsa_code_object_version 6
	.protected	bluestein_single_fwd_len3200_dim1_dp_op_CI_CI ; -- Begin function bluestein_single_fwd_len3200_dim1_dp_op_CI_CI
	.globl	bluestein_single_fwd_len3200_dim1_dp_op_CI_CI
	.p2align	8
	.type	bluestein_single_fwd_len3200_dim1_dp_op_CI_CI,@function
bluestein_single_fwd_len3200_dim1_dp_op_CI_CI: ; @bluestein_single_fwd_len3200_dim1_dp_op_CI_CI
; %bb.0:
	s_load_b128 s[16:19], s[0:1], 0x28
	v_mul_u32_u24_e32 v1, 0x19a, v0
	s_mov_b32 s2, exec_lo
	v_mov_b32_e32 v5, 0
	s_delay_alu instid0(VALU_DEP_2) | instskip(NEXT) | instid1(VALU_DEP_1)
	v_lshrrev_b32_e32 v1, 16, v1
	v_add_nc_u32_e32 v4, s15, v1
	s_waitcnt lgkmcnt(0)
	s_delay_alu instid0(VALU_DEP_1)
	v_cmpx_gt_u64_e64 s[16:17], v[4:5]
	s_cbranch_execz .LBB0_2
; %bb.1:
	s_clause 0x1
	s_load_b128 s[4:7], s[0:1], 0x18
	s_load_b128 s[8:11], s[0:1], 0x0
	v_mul_lo_u16 v1, 0xa0, v1
	s_mov_b32 s17, 0xbfee6f0e
	s_mov_b32 s22, 0x9b97f4a8
	;; [unrolled: 1-line block ×4, first 2 shown]
	v_sub_nc_u16 v1, v0, v1
	s_mov_b32 s20, s22
	s_load_b64 s[0:1], s[0:1], 0x38
	s_delay_alu instid0(VALU_DEP_1) | instskip(NEXT) | instid1(VALU_DEP_1)
	v_dual_mov_b32 v7, v4 :: v_dual_and_b32 v196, 0xffff, v1
	v_or_b32_e32 v17, 0xa00, v196
	scratch_store_b64 off, v[7:8], off      ; 8-byte Folded Spill
	v_or_b32_e32 v8, 0x500, v196
	s_waitcnt lgkmcnt(0)
	s_load_b128 s[12:15], s[4:5], 0x0
	s_add_u32 s24, s8, 0xc800
	scratch_store_b32 off, v17, off offset:8 ; 4-byte Folded Spill
	v_lshlrev_b32_e32 v86, 4, v196
	s_addc_u32 s25, s9, 0
	global_load_b128 v[28:31], v86, s[8:9]
	s_waitcnt lgkmcnt(0)
	v_mad_u64_u32 v[2:3], null, s14, v4, 0
	v_mad_u64_u32 v[4:5], null, s12, v196, 0
	;; [unrolled: 1-line block ×3, first 2 shown]
	v_mov_b32_e32 v9, v8
	s_mul_hi_u32 s4, s12, 0x1400
	s_delay_alu instid0(VALU_DEP_4) | instskip(SKIP_1) | instid1(VALU_DEP_4)
	v_mov_b32_e32 v0, v3
	s_mul_i32 s3, s12, 0x1400
	v_mov_b32_e32 v3, v5
	s_delay_alu instid0(VALU_DEP_2) | instskip(NEXT) | instid1(VALU_DEP_2)
	v_mad_u64_u32 v[5:6], null, s15, v7, v[0:1]
	v_mad_u64_u32 v[6:7], null, s13, v196, v[3:4]
	s_mov_b32 s14, 0x134454ff
	s_mov_b32 s15, 0x3fee6f0e
	;; [unrolled: 1-line block ×3, first 2 shown]
	s_delay_alu instid0(VALU_DEP_2) | instskip(NEXT) | instid1(VALU_DEP_2)
	v_mov_b32_e32 v3, v5
	v_mov_b32_e32 v5, v6
	v_mad_u64_u32 v[6:7], null, s12, v8, 0
	s_delay_alu instid0(VALU_DEP_3) | instskip(NEXT) | instid1(VALU_DEP_2)
	v_lshlrev_b64 v[2:3], 4, v[2:3]
	v_mov_b32_e32 v0, v7
	s_delay_alu instid0(VALU_DEP_4) | instskip(NEXT) | instid1(VALU_DEP_3)
	v_lshlrev_b64 v[4:5], 4, v[4:5]
	v_add_co_u32 v13, vcc_lo, s18, v2
	s_delay_alu instid0(VALU_DEP_4) | instskip(NEXT) | instid1(VALU_DEP_4)
	v_add_co_ci_u32_e32 v16, vcc_lo, s19, v3, vcc_lo
	v_mad_u64_u32 v[7:8], null, s13, v9, v[0:1]
	s_delay_alu instid0(VALU_DEP_3) | instskip(NEXT) | instid1(VALU_DEP_3)
	v_add_co_u32 v14, vcc_lo, v13, v4
	v_add_co_ci_u32_e32 v15, vcc_lo, v16, v5, vcc_lo
	v_lshlrev_b32_e32 v0, 4, v9
	scratch_store_b32 off, v9, off offset:12 ; 4-byte Folded Spill
	v_lshlrev_b64 v[6:7], 4, v[6:7]
	global_load_b128 v[2:5], v[14:15], off
	s_mov_b32 s19, 0xbfd3c6ef
	scratch_store_b32 off, v0, off offset:340 ; 4-byte Folded Spill
	v_add_co_u32 v6, vcc_lo, v13, v6
	v_add_co_ci_u32_e32 v7, vcc_lo, v16, v7, vcc_lo
	global_load_b128 v[36:39], v0, s[8:9]
	global_load_b128 v[6:9], v[6:7], off
	v_mov_b32_e32 v0, v11
	s_delay_alu instid0(VALU_DEP_1) | instskip(SKIP_3) | instid1(VALU_DEP_1)
	v_mad_u64_u32 v[11:12], null, s13, v17, v[0:1]
	v_lshlrev_b32_e32 v0, 4, v17
	scratch_store_b32 off, v0, off offset:336 ; 4-byte Folded Spill
	v_lshlrev_b64 v[10:11], 4, v[10:11]
	v_add_co_u32 v10, vcc_lo, v13, v10
	s_delay_alu instid0(VALU_DEP_2) | instskip(SKIP_3) | instid1(VALU_DEP_1)
	v_add_co_ci_u32_e32 v11, vcc_lo, v16, v11, vcc_lo
	global_load_b128 v[32:35], v0, s[8:9]
	global_load_b128 v[10:13], v[10:11], off
	v_add_co_u32 v0, s2, s8, v86
	v_add_co_ci_u32_e64 v82, null, s9, 0, s2
	s_mul_i32 s2, s13, 0x1400
	s_delay_alu instid0(VALU_DEP_2) | instskip(NEXT) | instid1(VALU_DEP_2)
	v_add_co_u32 v46, vcc_lo, 0x1000, v0
	v_add_co_ci_u32_e32 v47, vcc_lo, 0, v82, vcc_lo
	s_add_i32 s2, s4, s2
	v_add_co_u32 v18, vcc_lo, v14, s3
	v_add_co_ci_u32_e32 v19, vcc_lo, s2, v15, vcc_lo
	global_load_b128 v[48:51], v[46:47], off offset:1024
	global_load_b128 v[14:17], v[18:19], off
	v_add_co_u32 v20, vcc_lo, 0x2000, v0
	v_add_co_ci_u32_e32 v21, vcc_lo, 0, v82, vcc_lo
	v_add_co_u32 v22, vcc_lo, v18, s3
	v_add_co_ci_u32_e32 v23, vcc_lo, s2, v19, vcc_lo
	global_load_b128 v[40:43], v[20:21], off offset:2048
	global_load_b128 v[18:21], v[22:23], off
	s_mul_i32 s4, s13, 0x2800
	global_load_b128 v[56:59], v86, s[8:9] offset:2560
	s_waitcnt vmcnt(10)
	scratch_store_b128 off, v[28:31], off offset:112 ; 16-byte Folded Spill
	s_waitcnt vmcnt(9)
	v_mul_f64 v[26:27], v[2:3], v[30:31]
	v_mul_f64 v[24:25], v[4:5], v[30:31]
	s_waitcnt vmcnt(8)
	scratch_store_b128 off, v[36:39], off offset:32 ; 16-byte Folded Spill
	s_waitcnt vmcnt(6)
	scratch_store_b128 off, v[32:35], off offset:16 ; 16-byte Folded Spill
	v_fma_f64 v[4:5], v[4:5], v[28:29], -v[26:27]
	v_mul_f64 v[26:27], v[6:7], v[38:39]
	v_fma_f64 v[2:3], v[2:3], v[28:29], v[24:25]
	v_mul_f64 v[24:25], v[8:9], v[38:39]
	s_waitcnt vmcnt(4)
	scratch_store_b128 off, v[48:51], off offset:176 ; 16-byte Folded Spill
	s_waitcnt vmcnt(2)
	scratch_store_b128 off, v[40:43], off offset:128 ; 16-byte Folded Spill
	v_fma_f64 v[8:9], v[8:9], v[36:37], -v[26:27]
	v_mul_f64 v[26:27], v[10:11], v[34:35]
	v_fma_f64 v[6:7], v[6:7], v[36:37], v[24:25]
	v_mul_f64 v[24:25], v[12:13], v[34:35]
	s_delay_alu instid0(VALU_DEP_3) | instskip(SKIP_1) | instid1(VALU_DEP_3)
	v_fma_f64 v[12:13], v[12:13], v[32:33], -v[26:27]
	v_mul_f64 v[26:27], v[14:15], v[50:51]
	v_fma_f64 v[10:11], v[10:11], v[32:33], v[24:25]
	v_mul_f64 v[24:25], v[16:17], v[50:51]
	v_add_co_u32 v50, vcc_lo, 0x3000, v0
	v_add_co_ci_u32_e32 v51, vcc_lo, 0, v82, vcc_lo
	s_clause 0x1
	global_load_b128 v[32:35], v[50:51], off offset:3072
	global_load_b128 v[68:71], v[50:51], off offset:512
	s_mov_b32 s9, 0xbfe2cf23
	s_waitcnt vmcnt(2)
	scratch_store_b128 off, v[56:59], off offset:160 ; 16-byte Folded Spill
	v_fma_f64 v[16:17], v[16:17], v[48:49], -v[26:27]
	v_mul_f64 v[26:27], v[18:19], v[42:43]
	v_fma_f64 v[14:15], v[14:15], v[48:49], v[24:25]
	v_mul_f64 v[24:25], v[20:21], v[42:43]
	s_delay_alu instid0(VALU_DEP_3) | instskip(SKIP_2) | instid1(VALU_DEP_4)
	v_fma_f64 v[20:21], v[20:21], v[40:41], -v[26:27]
	v_add_co_u32 v26, vcc_lo, v22, s3
	v_add_co_ci_u32_e32 v27, vcc_lo, s2, v23, vcc_lo
	v_fma_f64 v[18:19], v[18:19], v[40:41], v[24:25]
	v_add_co_u32 v62, vcc_lo, 0x6000, v0
	global_load_b128 v[22:25], v[26:27], off
	v_add_co_ci_u32_e32 v63, vcc_lo, 0, v82, vcc_lo
	global_load_b128 v[36:39], v[62:63], off offset:1024
	s_waitcnt vmcnt(3)
	scratch_store_b128 off, v[32:35], off offset:144 ; 16-byte Folded Spill
	s_waitcnt vmcnt(2)
	scratch_store_b128 off, v[68:71], off offset:208 ; 16-byte Folded Spill
	s_waitcnt vmcnt(1)
	v_mul_f64 v[30:31], v[22:23], v[34:35]
	v_mul_f64 v[28:29], v[24:25], v[34:35]
	s_delay_alu instid0(VALU_DEP_2) | instskip(SKIP_1) | instid1(VALU_DEP_3)
	v_fma_f64 v[24:25], v[24:25], v[32:33], -v[30:31]
	v_mad_u64_u32 v[30:31], null, 0x2800, s12, v[26:27]
	v_fma_f64 v[22:23], v[22:23], v[32:33], v[28:29]
	s_delay_alu instid0(VALU_DEP_2) | instskip(SKIP_4) | instid1(VALU_DEP_2)
	v_add_nc_u32_e32 v31, s4, v31
	global_load_b128 v[26:29], v[30:31], off
	s_waitcnt vmcnt(0)
	v_mul_f64 v[34:35], v[26:27], v[38:39]
	v_mul_f64 v[32:33], v[28:29], v[38:39]
	v_fma_f64 v[28:29], v[28:29], v[36:37], -v[34:35]
	v_add_co_u32 v34, vcc_lo, v30, s3
	v_add_co_ci_u32_e32 v35, vcc_lo, s2, v31, vcc_lo
	v_add_co_u32 v30, vcc_lo, 0x7000, v0
	v_add_co_ci_u32_e32 v31, vcc_lo, 0, v82, vcc_lo
	v_fma_f64 v[26:27], v[26:27], v[36:37], v[32:33]
	global_load_b128 v[40:43], v[30:31], off offset:2048
	global_load_b128 v[30:33], v[34:35], off
	scratch_store_b128 off, v[36:39], off offset:48 ; 16-byte Folded Spill
	s_waitcnt vmcnt(1)
	scratch_store_b128 off, v[40:43], off offset:64 ; 16-byte Folded Spill
	s_waitcnt vmcnt(0)
	v_mul_f64 v[38:39], v[30:31], v[42:43]
	v_mul_f64 v[36:37], v[32:33], v[42:43]
	s_delay_alu instid0(VALU_DEP_2)
	v_fma_f64 v[32:33], v[32:33], v[40:41], -v[38:39]
	v_add_co_u32 v38, vcc_lo, v34, s3
	v_add_co_ci_u32_e32 v39, vcc_lo, s2, v35, vcc_lo
	v_add_co_u32 v66, vcc_lo, 0x8000, v0
	v_add_co_ci_u32_e32 v67, vcc_lo, 0, v82, vcc_lo
	v_fma_f64 v[30:31], v[30:31], v[40:41], v[36:37]
	global_load_b128 v[34:37], v[38:39], off
	v_add_co_u32 v78, vcc_lo, 0xb000, v0
	global_load_b128 v[52:55], v[66:67], off offset:3072
	v_add_co_ci_u32_e32 v79, vcc_lo, 0, v82, vcc_lo
	global_load_b128 v[87:90], v[66:67], off offset:512
	s_waitcnt vmcnt(1)
	v_mul_f64 v[42:43], v[34:35], v[54:55]
	v_mul_f64 v[40:41], v[36:37], v[54:55]
	scratch_store_b128 off, v[52:55], off offset:80 ; 16-byte Folded Spill
	s_waitcnt vmcnt(0)
	scratch_store_b128 off, v[87:90], off offset:272 ; 16-byte Folded Spill
	v_fma_f64 v[36:37], v[36:37], v[52:53], -v[42:43]
	v_mad_u64_u32 v[42:43], null, 0x2800, s12, v[38:39]
	v_fma_f64 v[34:35], v[34:35], v[52:53], v[40:41]
	global_load_b128 v[52:55], v[78:79], off offset:1024
	v_add_nc_u32_e32 v43, s4, v43
	s_mul_i32 s4, s13, 0xffff5600
	s_delay_alu instid0(SALU_CYCLE_1)
	s_sub_i32 s4, s4, s12
	global_load_b128 v[38:41], v[42:43], off
	s_waitcnt vmcnt(1)
	scratch_store_b128 off, v[52:55], off offset:96 ; 16-byte Folded Spill
	s_waitcnt vmcnt(0)
	v_mul_f64 v[48:49], v[38:39], v[54:55]
	v_mul_f64 v[44:45], v[40:41], v[54:55]
	s_delay_alu instid0(VALU_DEP_2) | instskip(SKIP_1) | instid1(VALU_DEP_3)
	v_fma_f64 v[40:41], v[40:41], v[52:53], -v[48:49]
	v_mad_u64_u32 v[48:49], null, 0xffff5600, s12, v[42:43]
	v_fma_f64 v[38:39], v[38:39], v[52:53], v[44:45]
	s_mov_b32 s12, 0x372fe950
	s_mov_b32 s13, 0x3fd3c6ef
	;; [unrolled: 1-line block ×3, first 2 shown]
	s_delay_alu instid0(VALU_DEP_2)
	v_add_nc_u32_e32 v49, s4, v49
	global_load_b128 v[42:45], v[48:49], off
	s_waitcnt vmcnt(0)
	v_mul_f64 v[52:53], v[44:45], v[58:59]
	v_mul_f64 v[54:55], v[42:43], v[58:59]
	global_load_b128 v[58:61], v[46:47], off offset:3584
	v_fma_f64 v[42:43], v[42:43], v[56:57], v[52:53]
	v_add_co_u32 v52, vcc_lo, v48, s3
	v_add_co_ci_u32_e32 v53, vcc_lo, s2, v49, vcc_lo
	v_fma_f64 v[44:45], v[44:45], v[56:57], -v[54:55]
	global_load_b128 v[46:49], v[52:53], off
	s_waitcnt vmcnt(1)
	scratch_store_b128 off, v[58:61], off offset:192 ; 16-byte Folded Spill
	s_waitcnt vmcnt(0)
	v_mul_f64 v[54:55], v[48:49], v[60:61]
	v_mul_f64 v[56:57], v[46:47], v[60:61]
	s_delay_alu instid0(VALU_DEP_2) | instskip(SKIP_2) | instid1(VALU_DEP_4)
	v_fma_f64 v[46:47], v[46:47], v[58:59], v[54:55]
	v_add_co_u32 v54, vcc_lo, v52, s3
	v_add_co_ci_u32_e32 v55, vcc_lo, s2, v53, vcc_lo
	v_fma_f64 v[48:49], v[48:49], v[58:59], -v[56:57]
	global_load_b128 v[50:53], v[54:55], off
	s_waitcnt vmcnt(0)
	v_mul_f64 v[58:59], v[50:51], v[70:71]
	v_mul_f64 v[56:57], v[52:53], v[70:71]
	s_delay_alu instid0(VALU_DEP_2)
	v_fma_f64 v[52:53], v[52:53], v[68:69], -v[58:59]
	v_add_co_u32 v58, vcc_lo, v54, s3
	v_add_co_ci_u32_e32 v59, vcc_lo, s2, v55, vcc_lo
	v_add_co_u32 v54, vcc_lo, 0x4000, v0
	v_add_co_ci_u32_e32 v55, vcc_lo, 0, v82, vcc_lo
	v_fma_f64 v[50:51], v[50:51], v[68:69], v[56:57]
	global_load_b128 v[68:71], v[54:55], off offset:1536
	global_load_b128 v[54:57], v[58:59], off
	s_waitcnt vmcnt(0)
	v_mul_f64 v[64:65], v[54:55], v[70:71]
	v_mul_f64 v[60:61], v[56:57], v[70:71]
	s_delay_alu instid0(VALU_DEP_2)
	v_fma_f64 v[56:57], v[56:57], v[68:69], -v[64:65]
	v_add_co_u32 v64, vcc_lo, v58, s3
	v_add_co_ci_u32_e32 v65, vcc_lo, s2, v59, vcc_lo
	v_add_co_u32 v58, vcc_lo, 0x5000, v0
	v_add_co_ci_u32_e32 v59, vcc_lo, 0, v82, vcc_lo
	v_fma_f64 v[54:55], v[54:55], v[68:69], v[60:61]
	global_load_b128 v[72:75], v[58:59], off offset:2560
	global_load_b128 v[58:61], v[64:65], off
	scratch_store_b128 off, v[68:71], off offset:224 ; 16-byte Folded Spill
	s_waitcnt vmcnt(1)
	scratch_store_b128 off, v[72:75], off offset:240 ; 16-byte Folded Spill
	s_waitcnt vmcnt(0)
	v_mul_f64 v[68:69], v[60:61], v[74:75]
	v_mul_f64 v[70:71], v[58:59], v[74:75]
	global_load_b128 v[74:77], v[62:63], off offset:3584
	v_fma_f64 v[58:59], v[58:59], v[72:73], v[68:69]
	v_add_co_u32 v68, vcc_lo, v64, s3
	v_add_co_ci_u32_e32 v69, vcc_lo, s2, v65, vcc_lo
	v_fma_f64 v[60:61], v[60:61], v[72:73], -v[70:71]
	global_load_b128 v[62:65], v[68:69], off
	s_waitcnt vmcnt(1)
	scratch_store_b128 off, v[74:77], off offset:256 ; 16-byte Folded Spill
	s_waitcnt vmcnt(0)
	v_mul_f64 v[70:71], v[64:65], v[76:77]
	v_mul_f64 v[72:73], v[62:63], v[76:77]
	s_delay_alu instid0(VALU_DEP_2) | instskip(SKIP_2) | instid1(VALU_DEP_4)
	v_fma_f64 v[62:63], v[62:63], v[74:75], v[70:71]
	v_add_co_u32 v70, vcc_lo, v68, s3
	v_add_co_ci_u32_e32 v71, vcc_lo, s2, v69, vcc_lo
	v_fma_f64 v[64:65], v[64:65], v[74:75], -v[72:73]
	global_load_b128 v[66:69], v[70:71], off
	s_waitcnt vmcnt(0)
	v_mul_f64 v[74:75], v[66:67], v[89:90]
	v_mul_f64 v[72:73], v[68:69], v[89:90]
	s_delay_alu instid0(VALU_DEP_2)
	v_fma_f64 v[68:69], v[68:69], v[87:88], -v[74:75]
	v_add_co_u32 v74, vcc_lo, v70, s3
	v_add_co_ci_u32_e32 v75, vcc_lo, s2, v71, vcc_lo
	v_add_co_u32 v70, vcc_lo, 0x9000, v0
	v_add_co_ci_u32_e32 v71, vcc_lo, 0, v82, vcc_lo
	v_fma_f64 v[66:67], v[66:67], v[87:88], v[72:73]
	global_load_b128 v[87:90], v[70:71], off offset:1536
	global_load_b128 v[70:73], v[74:75], off
	s_waitcnt vmcnt(1)
	scratch_store_b128 off, v[87:90], off offset:288 ; 16-byte Folded Spill
	s_waitcnt vmcnt(0)
	v_mul_f64 v[80:81], v[70:71], v[89:90]
	v_mul_f64 v[76:77], v[72:73], v[89:90]
	s_delay_alu instid0(VALU_DEP_2)
	v_fma_f64 v[72:73], v[72:73], v[87:88], -v[80:81]
	v_add_co_u32 v80, vcc_lo, v74, s3
	v_add_co_ci_u32_e32 v81, vcc_lo, s2, v75, vcc_lo
	v_add_co_u32 v74, vcc_lo, 0xa000, v0
	v_add_co_ci_u32_e32 v75, vcc_lo, 0, v82, vcc_lo
	v_fma_f64 v[70:71], v[70:71], v[87:88], v[76:77]
	v_mul_lo_u16 v0, v1, 10
	global_load_b128 v[87:90], v[74:75], off offset:2560
	global_load_b128 v[74:77], v[80:81], off
	v_add_co_u32 v80, vcc_lo, v80, s3
	v_add_co_ci_u32_e32 v81, vcc_lo, s2, v81, vcc_lo
	s_mov_b32 s2, 0x4755a5e
	s_mov_b32 s3, 0x3fe2cf23
	s_mov_b32 s8, s2
	v_and_b32_e32 v0, 0xffff, v0
	v_cmp_gt_u16_e32 vcc_lo, 0x64, v1
	s_waitcnt vmcnt(1)
	scratch_store_b128 off, v[87:90], off offset:304 ; 16-byte Folded Spill
	s_waitcnt vmcnt(0)
	v_mul_f64 v[82:83], v[76:77], v[89:90]
	v_mul_f64 v[84:85], v[74:75], v[89:90]
	s_delay_alu instid0(VALU_DEP_2) | instskip(NEXT) | instid1(VALU_DEP_2)
	v_fma_f64 v[74:75], v[74:75], v[87:88], v[82:83]
	v_fma_f64 v[76:77], v[76:77], v[87:88], -v[84:85]
	global_load_b128 v[87:90], v[78:79], off offset:3584
	global_load_b128 v[78:81], v[80:81], off
	s_waitcnt vmcnt(1)
	scratch_store_b128 off, v[87:90], off offset:320 ; 16-byte Folded Spill
	s_waitcnt vmcnt(0)
	v_mul_f64 v[82:83], v[80:81], v[89:90]
	v_mul_f64 v[84:85], v[78:79], v[89:90]
	s_delay_alu instid0(VALU_DEP_2) | instskip(NEXT) | instid1(VALU_DEP_2)
	v_fma_f64 v[78:79], v[78:79], v[87:88], v[82:83]
	v_fma_f64 v[80:81], v[80:81], v[87:88], -v[84:85]
	ds_store_b128 v86, v[6:9] offset:20480
	ds_store_b128 v86, v[10:13] offset:40960
	ds_store_b128 v86, v[2:5]
	ds_store_b128 v86, v[14:17] offset:5120
	ds_store_b128 v86, v[18:21] offset:10240
	;; [unrolled: 1-line block ×17, first 2 shown]
	s_load_b128 s[4:7], s[6:7], 0x0
	s_waitcnt lgkmcnt(0)
	s_waitcnt_vscnt null, 0x0
	s_barrier
	buffer_gl0_inv
	ds_load_b128 v[40:43], v86
	ds_load_b128 v[44:47], v86 offset:10240
	ds_load_b128 v[2:5], v86 offset:20480
	;; [unrolled: 1-line block ×3, first 2 shown]
	s_waitcnt lgkmcnt(2)
	v_add_f64 v[6:7], v[40:41], v[44:45]
	s_waitcnt lgkmcnt(1)
	v_add_f64 v[24:25], v[44:45], -v[2:3]
	s_waitcnt lgkmcnt(0)
	v_add_f64 v[28:29], v[2:3], v[8:9]
	v_add_f64 v[20:21], v[2:3], -v[44:45]
	v_add_f64 v[14:15], v[2:3], -v[8:9]
	;; [unrolled: 1-line block ×3, first 2 shown]
	v_add_f64 v[30:31], v[4:5], v[10:11]
	v_add_f64 v[26:27], v[46:47], -v[4:5]
	v_add_f64 v[22:23], v[4:5], -v[46:47]
	v_add_f64 v[38:39], v[6:7], v[2:3]
	v_add_f64 v[6:7], v[42:43], v[46:47]
	s_delay_alu instid0(VALU_DEP_2) | instskip(NEXT) | instid1(VALU_DEP_2)
	v_add_f64 v[2:3], v[38:39], v[8:9]
	v_add_f64 v[36:37], v[6:7], v[4:5]
	ds_load_b128 v[4:7], v86 offset:40960
	s_waitcnt lgkmcnt(0)
	v_add_f64 v[16:17], v[46:47], -v[6:7]
	v_add_f64 v[32:33], v[44:45], v[4:5]
	v_add_f64 v[18:19], v[44:45], -v[4:5]
	v_add_f64 v[34:35], v[46:47], v[6:7]
	v_add_f64 v[56:57], v[4:5], -v[8:9]
	v_add_f64 v[58:59], v[8:9], -v[4:5]
	;; [unrolled: 1-line block ×3, first 2 shown]
	v_add_f64 v[62:63], v[2:3], v[4:5]
	v_add_f64 v[36:37], v[36:37], v[10:11]
	v_add_f64 v[10:11], v[10:11], -v[6:7]
	v_add_f64 v[56:57], v[24:25], v[56:57]
	v_add_f64 v[60:61], v[26:27], v[60:61]
	s_delay_alu instid0(VALU_DEP_4)
	v_add_f64 v[64:65], v[36:37], v[6:7]
	ds_load_b128 v[2:5], v86 offset:5120
	ds_load_b128 v[6:9], v86 offset:15360
	;; [unrolled: 1-line block ×4, first 2 shown]
	v_add_f64 v[10:11], v[22:23], v[10:11]
	s_waitcnt lgkmcnt(2)
	v_add_f64 v[48:49], v[2:3], v[6:7]
	v_add_f64 v[50:51], v[4:5], v[8:9]
	s_waitcnt lgkmcnt(1)
	v_add_f64 v[66:67], v[8:9], -v[38:39]
	s_waitcnt lgkmcnt(0)
	v_add_f64 v[68:69], v[6:7], -v[44:45]
	v_add_f64 v[70:71], v[6:7], v[36:37]
	v_add_f64 v[72:73], v[8:9], v[38:39]
	v_add_f64 v[74:75], v[44:45], -v[6:7]
	v_add_f64 v[76:77], v[6:7], -v[36:37]
	v_add_f64 v[78:79], v[8:9], -v[46:47]
	v_add_f64 v[80:81], v[46:47], -v[8:9]
	ds_load_b128 v[6:9], v86 offset:35840
	s_waitcnt lgkmcnt(0)
	v_add_f64 v[82:83], v[44:45], v[6:7]
	v_add_f64 v[84:85], v[46:47], -v[8:9]
	v_add_f64 v[87:88], v[46:47], v[8:9]
	v_add_f64 v[89:90], v[44:45], -v[6:7]
	v_add_f64 v[91:92], v[36:37], -v[6:7]
	;; [unrolled: 1-line block ×5, first 2 shown]
	v_add_f64 v[48:49], v[48:49], v[44:45]
	v_add_f64 v[50:51], v[50:51], v[46:47]
	v_fma_f64 v[70:71], v[70:71], -0.5, v[2:3]
	v_fma_f64 v[72:73], v[72:73], -0.5, v[4:5]
	v_fma_f64 v[82:83], v[82:83], -0.5, v[2:3]
	v_fma_f64 v[87:88], v[87:88], -0.5, v[4:5]
	v_add_f64 v[44:45], v[48:49], v[6:7]
	v_add_f64 v[46:47], v[50:51], v[8:9]
	v_fma_f64 v[22:23], v[84:85], s[16:17], v[70:71]
	v_fma_f64 v[24:25], v[66:67], s[14:15], v[82:83]
	;; [unrolled: 1-line block ×3, first 2 shown]
	v_add_f64 v[99:100], v[44:45], v[36:37]
	v_add_f64 v[101:102], v[46:47], v[38:39]
	ds_load_b128 v[6:9], v86 offset:2560
	ds_load_b128 v[36:39], v86 offset:12800
	;; [unrolled: 1-line block ×4, first 2 shown]
	v_fma_f64 v[22:23], v[66:67], s[2:3], v[22:23]
	s_waitcnt lgkmcnt(2)
	v_add_f64 v[52:53], v[6:7], v[36:37]
	v_add_f64 v[54:55], v[8:9], v[38:39]
	s_waitcnt lgkmcnt(1)
	v_add_f64 v[103:104], v[36:37], v[44:45]
	v_add_f64 v[105:106], v[38:39], v[46:47]
	v_add_f64 v[107:108], v[38:39], -v[46:47]
	s_waitcnt lgkmcnt(0)
	v_add_f64 v[109:110], v[36:37], -v[48:49]
	v_add_f64 v[111:112], v[48:49], -v[36:37]
	;; [unrolled: 1-line block ×5, first 2 shown]
	ds_load_b128 v[36:39], v86 offset:33280
	v_fma_f64 v[24:25], v[84:85], s[2:3], v[24:25]
	v_fma_f64 v[26:27], v[89:90], s[8:9], v[26:27]
	v_add_f64 v[2:3], v[62:63], v[99:100]
	v_add_f64 v[4:5], v[64:65], v[101:102]
	s_waitcnt lgkmcnt(0)
	v_add_f64 v[119:120], v[48:49], v[36:37]
	v_add_f64 v[121:122], v[50:51], v[38:39]
	v_add_f64 v[123:124], v[50:51], -v[38:39]
	v_add_f64 v[125:126], v[48:49], -v[36:37]
	;; [unrolled: 1-line block ×6, first 2 shown]
	v_add_f64 v[52:53], v[52:53], v[48:49]
	v_add_f64 v[54:55], v[54:55], v[50:51]
	v_fma_f64 v[103:104], v[103:104], -0.5, v[6:7]
	v_fma_f64 v[105:106], v[105:106], -0.5, v[8:9]
	;; [unrolled: 1-line block ×3, first 2 shown]
	v_add_f64 v[6:7], v[62:63], -v[99:100]
	v_add_f64 v[62:63], v[68:69], v[91:92]
	v_fma_f64 v[121:122], v[121:122], -0.5, v[8:9]
	v_add_f64 v[8:9], v[64:65], -v[101:102]
	v_add_f64 v[64:65], v[78:79], v[95:96]
	v_add_f64 v[78:79], v[115:116], v[131:132]
	v_lshlrev_b32_e32 v99, 4, v0
	v_add_f64 v[48:49], v[52:53], v[36:37]
	v_add_f64 v[50:51], v[54:55], v[38:39]
	v_fma_f64 v[24:25], v[62:63], s[12:13], v[24:25]
	v_fma_f64 v[91:92], v[113:114], s[14:15], v[121:122]
	;; [unrolled: 1-line block ×3, first 2 shown]
	v_add_f64 v[135:136], v[48:49], v[44:45]
	v_add_f64 v[137:138], v[50:51], v[46:47]
	ds_load_b128 v[36:39], v86 offset:7680
	ds_load_b128 v[44:47], v86 offset:17920
	;; [unrolled: 1-line block ×4, first 2 shown]
	s_waitcnt lgkmcnt(2)
	v_add_f64 v[139:140], v[36:37], v[44:45]
	v_add_f64 v[141:142], v[38:39], v[46:47]
	s_waitcnt lgkmcnt(1)
	v_add_f64 v[143:144], v[46:47], -v[50:51]
	s_waitcnt lgkmcnt(0)
	v_add_f64 v[145:146], v[44:45], -v[52:53]
	v_add_f64 v[147:148], v[44:45], v[48:49]
	v_add_f64 v[149:150], v[52:53], -v[44:45]
	v_add_f64 v[151:152], v[44:45], -v[48:49]
	;; [unrolled: 1-line block ×3, first 2 shown]
	v_add_f64 v[155:156], v[46:47], v[50:51]
	v_add_f64 v[157:158], v[54:55], -v[46:47]
	ds_load_b128 v[44:47], v86 offset:38400
	v_fma_f64 v[91:92], v[125:126], s[2:3], v[91:92]
	s_waitcnt lgkmcnt(0)
	s_barrier
	buffer_gl0_inv
	v_add_f64 v[159:160], v[52:53], v[44:45]
	v_add_f64 v[163:164], v[52:53], -v[44:45]
	v_add_f64 v[161:162], v[54:55], v[46:47]
	v_add_f64 v[165:166], v[54:55], -v[46:47]
	v_add_f64 v[167:168], v[50:51], -v[46:47]
	;; [unrolled: 1-line block ×3, first 2 shown]
	v_add_f64 v[139:140], v[139:140], v[52:53]
	v_add_f64 v[141:142], v[141:142], v[54:55]
	v_fma_f64 v[147:148], v[147:148], -0.5, v[36:37]
	v_fma_f64 v[155:156], v[155:156], -0.5, v[38:39]
	;; [unrolled: 1-line block ×3, first 2 shown]
	v_mul_f64 v[36:37], v[24:25], s[22:23]
	v_mul_f64 v[24:25], v[24:25], s[8:9]
	v_fma_f64 v[161:162], v[161:162], -0.5, v[38:39]
	v_add_f64 v[52:53], v[139:140], v[44:45]
	v_add_f64 v[54:55], v[141:142], v[46:47]
	v_add_f64 v[139:140], v[48:49], -v[44:45]
	v_add_f64 v[141:142], v[44:45], -v[48:49]
	v_fma_f64 v[36:37], v[26:27], s[2:3], v[36:37]
	v_fma_f64 v[38:39], v[26:27], s[22:23], v[24:25]
	v_add_f64 v[44:45], v[52:53], v[48:49]
	v_fma_f64 v[52:53], v[28:29], -0.5, v[40:41]
	v_fma_f64 v[48:49], v[32:33], -0.5, v[40:41]
	v_add_f64 v[46:47], v[54:55], v[50:51]
	v_fma_f64 v[54:55], v[30:31], -0.5, v[42:43]
	v_fma_f64 v[50:51], v[34:35], -0.5, v[42:43]
	v_add_f64 v[28:29], v[135:136], v[44:45]
	v_add_f64 v[32:33], v[135:136], -v[44:45]
	v_fma_f64 v[24:25], v[16:17], s[14:15], v[52:53]
	v_add_f64 v[44:45], v[20:21], v[58:59]
	v_fma_f64 v[20:21], v[89:90], s[14:15], v[72:73]
	v_add_f64 v[58:59], v[80:81], v[97:98]
	v_add_f64 v[30:31], v[137:138], v[46:47]
	v_add_f64 v[34:35], v[137:138], -v[46:47]
	v_fma_f64 v[26:27], v[18:19], s[16:17], v[54:55]
	v_add_f64 v[46:47], v[74:75], v[93:94]
	v_add_f64 v[80:81], v[145:146], v[139:140]
	v_fma_f64 v[24:25], v[12:13], s[2:3], v[24:25]
	v_fma_f64 v[20:21], v[76:77], s[8:9], v[20:21]
	;; [unrolled: 1-line block ×4, first 2 shown]
	s_delay_alu instid0(VALU_DEP_4) | instskip(NEXT) | instid1(VALU_DEP_4)
	v_fma_f64 v[40:41], v[56:57], s[12:13], v[24:25]
	v_fma_f64 v[20:21], v[58:59], s[12:13], v[20:21]
	s_delay_alu instid0(VALU_DEP_4) | instskip(NEXT) | instid1(VALU_DEP_3)
	v_fma_f64 v[42:43], v[60:61], s[12:13], v[26:27]
	v_add_f64 v[24:25], v[40:41], v[36:37]
	v_add_f64 v[36:37], v[40:41], -v[36:37]
	s_delay_alu instid0(VALU_DEP_4) | instskip(NEXT) | instid1(VALU_DEP_4)
	v_mul_f64 v[40:41], v[20:21], s[14:15]
	v_add_f64 v[26:27], v[42:43], v[38:39]
	v_add_f64 v[38:39], v[42:43], -v[38:39]
	s_delay_alu instid0(VALU_DEP_3) | instskip(SKIP_1) | instid1(VALU_DEP_1)
	v_fma_f64 v[40:41], v[22:23], s[12:13], v[40:41]
	v_mul_f64 v[22:23], v[22:23], s[16:17]
	v_fma_f64 v[42:43], v[20:21], s[12:13], v[22:23]
	v_fma_f64 v[20:21], v[12:13], s[16:17], v[48:49]
	;; [unrolled: 1-line block ×4, first 2 shown]
	s_delay_alu instid0(VALU_DEP_3) | instskip(NEXT) | instid1(VALU_DEP_3)
	v_fma_f64 v[20:21], v[16:17], s[2:3], v[20:21]
	v_fma_f64 v[48:49], v[16:17], s[8:9], v[48:49]
	s_delay_alu instid0(VALU_DEP_3) | instskip(SKIP_1) | instid1(VALU_DEP_4)
	v_fma_f64 v[22:23], v[18:19], s[8:9], v[22:23]
	v_fma_f64 v[16:17], v[16:17], s[16:17], v[52:53]
	;; [unrolled: 1-line block ×3, first 2 shown]
	s_delay_alu instid0(VALU_DEP_4)
	v_fma_f64 v[48:49], v[44:45], s[12:13], v[48:49]
	v_fma_f64 v[44:45], v[14:15], s[16:17], v[50:51]
	;; [unrolled: 1-line block ×4, first 2 shown]
	v_add_f64 v[20:21], v[68:69], v[40:41]
	v_add_f64 v[40:41], v[68:69], -v[40:41]
	v_fma_f64 v[68:69], v[84:85], s[14:15], v[70:71]
	v_fma_f64 v[44:45], v[18:19], s[2:3], v[44:45]
	;; [unrolled: 1-line block ×4, first 2 shown]
	v_add_f64 v[22:23], v[74:75], v[42:43]
	v_add_f64 v[42:43], v[74:75], -v[42:43]
	v_fma_f64 v[68:69], v[66:67], s[8:9], v[68:69]
	v_fma_f64 v[10:11], v[10:11], s[12:13], v[44:45]
	;; [unrolled: 1-line block ×7, first 2 shown]
	v_add_f64 v[73:74], v[149:150], v[141:142]
	v_add_f64 v[71:72], v[117:118], v[133:134]
	s_delay_alu instid0(VALU_DEP_4) | instskip(NEXT) | instid1(VALU_DEP_4)
	v_mul_f64 v[44:45], v[46:47], s[18:19]
	v_fma_f64 v[68:69], v[76:77], s[2:3], v[68:69]
	s_delay_alu instid0(VALU_DEP_1) | instskip(SKIP_1) | instid1(VALU_DEP_2)
	v_fma_f64 v[58:59], v[58:59], s[12:13], v[68:69]
	v_add_f64 v[69:70], v[111:112], v[129:130]
	v_fma_f64 v[50:51], v[58:59], s[14:15], v[44:45]
	v_mul_f64 v[44:45], v[58:59], s[18:19]
	s_delay_alu instid0(VALU_DEP_1) | instskip(NEXT) | instid1(VALU_DEP_3)
	v_fma_f64 v[58:59], v[46:47], s[16:17], v[44:45]
	v_add_f64 v[44:45], v[48:49], v[50:51]
	v_add_f64 v[48:49], v[48:49], -v[50:51]
	s_delay_alu instid0(VALU_DEP_3)
	v_add_f64 v[46:47], v[10:11], v[58:59]
	v_add_f64 v[50:51], v[10:11], -v[58:59]
	v_fma_f64 v[10:11], v[66:67], s[16:17], v[82:83]
	v_fma_f64 v[58:59], v[76:77], s[14:15], v[87:88]
	v_add_f64 v[82:83], v[153:154], v[167:168]
	v_add_f64 v[75:76], v[157:158], v[169:170]
	s_delay_alu instid0(VALU_DEP_4) | instskip(NEXT) | instid1(VALU_DEP_4)
	v_fma_f64 v[10:11], v[84:85], s[8:9], v[10:11]
	v_fma_f64 v[52:53], v[89:90], s[2:3], v[58:59]
	s_delay_alu instid0(VALU_DEP_4) | instskip(NEXT) | instid1(VALU_DEP_3)
	v_fma_f64 v[54:55], v[82:83], s[12:13], v[54:55]
	v_fma_f64 v[10:11], v[62:63], s[12:13], v[10:11]
	s_delay_alu instid0(VALU_DEP_3) | instskip(SKIP_1) | instid1(VALU_DEP_3)
	v_fma_f64 v[16:17], v[64:65], s[12:13], v[52:53]
	v_fma_f64 v[52:53], v[60:61], s[12:13], v[14:15]
	v_mul_f64 v[12:13], v[10:11], s[20:21]
	s_delay_alu instid0(VALU_DEP_1) | instskip(SKIP_1) | instid1(VALU_DEP_1)
	v_fma_f64 v[14:15], v[16:17], s[2:3], v[12:13]
	v_mul_f64 v[12:13], v[16:17], s[20:21]
	v_fma_f64 v[16:17], v[10:11], s[8:9], v[12:13]
	s_delay_alu instid0(VALU_DEP_3) | instskip(SKIP_2) | instid1(VALU_DEP_4)
	v_add_f64 v[10:11], v[18:19], v[14:15]
	v_add_f64 v[14:15], v[18:19], -v[14:15]
	v_add_f64 v[18:19], v[109:110], v[127:128]
	v_add_f64 v[12:13], v[52:53], v[16:17]
	v_add_f64 v[16:17], v[52:53], -v[16:17]
	v_fma_f64 v[52:53], v[143:144], s[14:15], v[159:160]
	ds_store_b128 v99, v[2:5]
	ds_store_b128 v99, v[6:9] offset:80
	ds_store_b128 v99, v[24:27] offset:16
	;; [unrolled: 1-line block ×9, first 2 shown]
	v_add_co_u32 v2, null, 0xa0, v196
	s_delay_alu instid0(VALU_DEP_1) | instskip(SKIP_1) | instid1(VALU_DEP_1)
	v_mul_u32_u24_e32 v0, 10, v2
	v_fma_f64 v[52:53], v[165:166], s[2:3], v[52:53]
	v_fma_f64 v[52:53], v[80:81], s[12:13], v[52:53]
	s_delay_alu instid0(VALU_DEP_1) | instskip(SKIP_1) | instid1(VALU_DEP_2)
	v_mul_f64 v[56:57], v[52:53], s[22:23]
	v_mul_f64 v[52:53], v[52:53], s[8:9]
	v_fma_f64 v[56:57], v[54:55], s[2:3], v[56:57]
	s_delay_alu instid0(VALU_DEP_2) | instskip(SKIP_2) | instid1(VALU_DEP_2)
	v_fma_f64 v[58:59], v[54:55], s[22:23], v[52:53]
	v_fma_f64 v[52:53], v[107:108], s[14:15], v[119:120]
	;; [unrolled: 1-line block ×4, first 2 shown]
	s_delay_alu instid0(VALU_DEP_2) | instskip(NEXT) | instid1(VALU_DEP_2)
	v_fma_f64 v[54:55], v[125:126], s[8:9], v[54:55]
	v_fma_f64 v[60:61], v[18:19], s[12:13], v[52:53]
	s_delay_alu instid0(VALU_DEP_2) | instskip(NEXT) | instid1(VALU_DEP_2)
	v_fma_f64 v[62:63], v[78:79], s[12:13], v[54:55]
	v_add_f64 v[52:53], v[60:61], v[56:57]
	v_add_f64 v[56:57], v[60:61], -v[56:57]
	v_fma_f64 v[60:61], v[163:164], s[14:15], v[155:156]
	s_delay_alu instid0(VALU_DEP_4) | instskip(SKIP_2) | instid1(VALU_DEP_4)
	v_add_f64 v[54:55], v[62:63], v[58:59]
	v_add_f64 v[58:59], v[62:63], -v[58:59]
	v_fma_f64 v[62:63], v[165:166], s[16:17], v[147:148]
	v_fma_f64 v[60:61], v[151:152], s[8:9], v[60:61]
	s_delay_alu instid0(VALU_DEP_2) | instskip(NEXT) | instid1(VALU_DEP_2)
	v_fma_f64 v[62:63], v[143:144], s[2:3], v[62:63]
	v_fma_f64 v[60:61], v[75:76], s[12:13], v[60:61]
	s_delay_alu instid0(VALU_DEP_2) | instskip(NEXT) | instid1(VALU_DEP_2)
	v_fma_f64 v[62:63], v[73:74], s[12:13], v[62:63]
	v_mul_f64 v[64:65], v[60:61], s[14:15]
	s_delay_alu instid0(VALU_DEP_1) | instskip(SKIP_1) | instid1(VALU_DEP_1)
	v_fma_f64 v[64:65], v[62:63], s[12:13], v[64:65]
	v_mul_f64 v[62:63], v[62:63], s[16:17]
	v_fma_f64 v[67:68], v[60:61], s[12:13], v[62:63]
	v_fma_f64 v[60:61], v[123:124], s[16:17], v[103:104]
	;; [unrolled: 1-line block ×3, first 2 shown]
	s_delay_alu instid0(VALU_DEP_2) | instskip(NEXT) | instid1(VALU_DEP_2)
	v_fma_f64 v[60:61], v[107:108], s[2:3], v[60:61]
	v_fma_f64 v[62:63], v[113:114], s[8:9], v[62:63]
	s_delay_alu instid0(VALU_DEP_2) | instskip(NEXT) | instid1(VALU_DEP_2)
	v_fma_f64 v[84:85], v[69:70], s[12:13], v[60:61]
	v_fma_f64 v[87:88], v[71:72], s[12:13], v[62:63]
	s_delay_alu instid0(VALU_DEP_2) | instskip(SKIP_2) | instid1(VALU_DEP_4)
	v_add_f64 v[60:61], v[84:85], v[64:65]
	v_add_f64 v[65:66], v[84:85], -v[64:65]
	v_fma_f64 v[84:85], v[165:166], s[14:15], v[147:148]
	v_add_f64 v[62:63], v[87:88], v[67:68]
	v_add_f64 v[67:68], v[87:88], -v[67:68]
	s_delay_alu instid0(VALU_DEP_3) | instskip(NEXT) | instid1(VALU_DEP_1)
	v_fma_f64 v[84:85], v[143:144], s[8:9], v[84:85]
	v_fma_f64 v[73:74], v[73:74], s[12:13], v[84:85]
	;; [unrolled: 1-line block ×3, first 2 shown]
	s_delay_alu instid0(VALU_DEP_1) | instskip(NEXT) | instid1(VALU_DEP_1)
	v_fma_f64 v[84:85], v[151:152], s[2:3], v[84:85]
	v_fma_f64 v[75:76], v[75:76], s[12:13], v[84:85]
	;; [unrolled: 1-line block ×3, first 2 shown]
	v_lshlrev_b32_e32 v104, 4, v0
	v_and_b32_e32 v0, 0xff, v1
	s_delay_alu instid0(VALU_DEP_1) | instskip(NEXT) | instid1(VALU_DEP_4)
	v_mul_lo_u16 v0, 0xcd, v0
	v_fma_f64 v[84:85], v[107:108], s[8:9], v[84:85]
	s_delay_alu instid0(VALU_DEP_1) | instskip(SKIP_1) | instid1(VALU_DEP_1)
	v_fma_f64 v[84:85], v[69:70], s[12:13], v[84:85]
	v_fma_f64 v[69:70], v[125:126], s[16:17], v[105:106]
	;; [unrolled: 1-line block ×3, first 2 shown]
	s_delay_alu instid0(VALU_DEP_1) | instskip(SKIP_1) | instid1(VALU_DEP_1)
	v_fma_f64 v[87:88], v[71:72], s[12:13], v[69:70]
	v_mul_f64 v[69:70], v[73:74], s[18:19]
	v_fma_f64 v[89:90], v[75:76], s[14:15], v[69:70]
	v_mul_f64 v[69:70], v[75:76], s[18:19]
	s_delay_alu instid0(VALU_DEP_1) | instskip(NEXT) | instid1(VALU_DEP_3)
	v_fma_f64 v[76:77], v[73:74], s[16:17], v[69:70]
	v_add_f64 v[70:71], v[84:85], v[89:90]
	v_add_f64 v[74:75], v[84:85], -v[89:90]
	v_fma_f64 v[84:85], v[143:144], s[16:17], v[159:160]
	v_fma_f64 v[89:90], v[107:108], s[16:17], v[119:120]
	v_add_f64 v[72:73], v[87:88], v[76:77]
	v_add_f64 v[76:77], v[87:88], -v[76:77]
	v_fma_f64 v[87:88], v[151:152], s[14:15], v[161:162]
	v_fma_f64 v[84:85], v[165:166], s[8:9], v[84:85]
	;; [unrolled: 1-line block ×3, first 2 shown]
	s_delay_alu instid0(VALU_DEP_3) | instskip(NEXT) | instid1(VALU_DEP_3)
	v_fma_f64 v[87:88], v[163:164], s[2:3], v[87:88]
	v_fma_f64 v[80:81], v[80:81], s[12:13], v[84:85]
	v_fma_f64 v[84:85], v[78:79], s[12:13], v[91:92]
	s_delay_alu instid0(VALU_DEP_4) | instskip(NEXT) | instid1(VALU_DEP_4)
	v_fma_f64 v[18:19], v[18:19], s[12:13], v[89:90]
	v_fma_f64 v[82:83], v[82:83], s[12:13], v[87:88]
	s_delay_alu instid0(VALU_DEP_4) | instskip(NEXT) | instid1(VALU_DEP_1)
	v_mul_f64 v[78:79], v[80:81], s[20:21]
	v_fma_f64 v[87:88], v[82:83], s[2:3], v[78:79]
	v_mul_f64 v[78:79], v[82:83], s[20:21]
	s_delay_alu instid0(VALU_DEP_2) | instskip(NEXT) | instid1(VALU_DEP_2)
	v_add_f64 v[82:83], v[18:19], -v[87:88]
	v_fma_f64 v[89:90], v[80:81], s[8:9], v[78:79]
	v_add_f64 v[78:79], v[18:19], v[87:88]
	s_delay_alu instid0(VALU_DEP_2)
	v_add_f64 v[80:81], v[84:85], v[89:90]
	v_add_f64 v[84:85], v[84:85], -v[89:90]
	ds_store_b128 v104, v[28:31]
	ds_store_b128 v104, v[52:55] offset:16
	ds_store_b128 v104, v[60:63] offset:32
	;; [unrolled: 1-line block ×9, first 2 shown]
	v_lshrrev_b16 v65, 11, v0
	s_waitcnt lgkmcnt(0)
	s_barrier
	buffer_gl0_inv
	ds_load_b128 v[4:7], v86 offset:5120
	v_mul_lo_u16 v0, v65, 10
	s_delay_alu instid0(VALU_DEP_1) | instskip(NEXT) | instid1(VALU_DEP_1)
	v_sub_nc_u16 v0, v1, v0
	v_and_b32_e32 v3, 0xff, v0
	v_and_b32_e32 v0, 0xffff, v2
	s_delay_alu instid0(VALU_DEP_2) | instskip(NEXT) | instid1(VALU_DEP_2)
	v_mad_u64_u32 v[8:9], null, 0x90, v3, s[10:11]
	v_mul_u32_u24_e32 v0, 0xcccd, v0
	s_delay_alu instid0(VALU_DEP_1)
	v_lshrrev_b32_e32 v66, 19, v0
	s_clause 0x2
	global_load_b128 v[128:131], v[8:9], off
	global_load_b128 v[132:135], v[8:9], off offset:16
	global_load_b128 v[12:15], v[8:9], off offset:32
	v_mul_lo_u16 v0, v66, 10
	s_delay_alu instid0(VALU_DEP_1) | instskip(NEXT) | instid1(VALU_DEP_1)
	v_sub_nc_u16 v67, v2, v0
	v_mul_lo_u16 v0, 0x90, v67
	s_delay_alu instid0(VALU_DEP_1)
	v_and_b32_e32 v0, 0xffff, v0
	s_waitcnt vmcnt(2) lgkmcnt(0)
	v_mul_f64 v[10:11], v[6:7], v[130:131]
	s_waitcnt vmcnt(0)
	scratch_store_b128 off, v[12:15], off offset:344 ; 16-byte Folded Spill
	v_fma_f64 v[24:25], v[4:5], v[128:129], -v[10:11]
	v_mul_f64 v[4:5], v[4:5], v[130:131]
	s_delay_alu instid0(VALU_DEP_1) | instskip(SKIP_3) | instid1(VALU_DEP_1)
	v_fma_f64 v[26:27], v[6:7], v[128:129], v[4:5]
	ds_load_b128 v[4:7], v86 offset:10240
	s_waitcnt lgkmcnt(0)
	v_mul_f64 v[10:11], v[6:7], v[134:135]
	v_fma_f64 v[30:31], v[4:5], v[132:133], -v[10:11]
	v_mul_f64 v[4:5], v[4:5], v[134:135]
	s_delay_alu instid0(VALU_DEP_1) | instskip(SKIP_3) | instid1(VALU_DEP_1)
	v_fma_f64 v[32:33], v[6:7], v[132:133], v[4:5]
	ds_load_b128 v[4:7], v86 offset:15360
	s_waitcnt lgkmcnt(0)
	v_mul_f64 v[10:11], v[6:7], v[14:15]
	v_fma_f64 v[28:29], v[4:5], v[12:13], -v[10:11]
	v_mul_f64 v[4:5], v[4:5], v[14:15]
	s_delay_alu instid0(VALU_DEP_1)
	v_fma_f64 v[34:35], v[6:7], v[12:13], v[4:5]
	global_load_b128 v[12:15], v[8:9], off offset:48
	ds_load_b128 v[4:7], v86 offset:20480
	s_waitcnt vmcnt(0) lgkmcnt(0)
	v_mul_f64 v[10:11], v[6:7], v[14:15]
	scratch_store_b128 off, v[12:15], off offset:360 ; 16-byte Folded Spill
	v_fma_f64 v[36:37], v[4:5], v[12:13], -v[10:11]
	v_mul_f64 v[4:5], v[4:5], v[14:15]
	s_delay_alu instid0(VALU_DEP_1)
	v_fma_f64 v[38:39], v[6:7], v[12:13], v[4:5]
	global_load_b128 v[12:15], v[8:9], off offset:64
	ds_load_b128 v[4:7], v86 offset:25600
	s_waitcnt vmcnt(0) lgkmcnt(0)
	v_mul_f64 v[10:11], v[6:7], v[14:15]
	scratch_store_b128 off, v[12:15], off offset:376 ; 16-byte Folded Spill
	v_fma_f64 v[160:161], v[4:5], v[12:13], -v[10:11]
	v_mul_f64 v[4:5], v[4:5], v[14:15]
	s_delay_alu instid0(VALU_DEP_2) | instskip(NEXT) | instid1(VALU_DEP_2)
	v_add_f64 v[116:117], v[160:161], -v[28:29]
	v_fma_f64 v[162:163], v[6:7], v[12:13], v[4:5]
	global_load_b128 v[12:15], v[8:9], off offset:80
	ds_load_b128 v[4:7], v86 offset:30720
	s_waitcnt vmcnt(0) lgkmcnt(0)
	v_mul_f64 v[10:11], v[6:7], v[14:15]
	scratch_store_b128 off, v[12:15], off offset:392 ; 16-byte Folded Spill
	v_fma_f64 v[164:165], v[4:5], v[12:13], -v[10:11]
	v_mul_f64 v[4:5], v[4:5], v[14:15]
	s_delay_alu instid0(VALU_DEP_2) | instskip(NEXT) | instid1(VALU_DEP_2)
	v_add_f64 v[112:113], v[36:37], -v[164:165]
	v_fma_f64 v[166:167], v[6:7], v[12:13], v[4:5]
	global_load_b128 v[12:15], v[8:9], off offset:96
	ds_load_b128 v[4:7], v86 offset:35840
	v_add_f64 v[108:109], v[38:39], -v[166:167]
	s_waitcnt vmcnt(0) lgkmcnt(0)
	v_mul_f64 v[10:11], v[6:7], v[14:15]
	scratch_store_b128 off, v[12:15], off offset:408 ; 16-byte Folded Spill
	v_fma_f64 v[170:171], v[4:5], v[12:13], -v[10:11]
	v_mul_f64 v[4:5], v[4:5], v[14:15]
	s_delay_alu instid0(VALU_DEP_2) | instskip(NEXT) | instid1(VALU_DEP_2)
	v_add_f64 v[93:94], v[160:161], -v[170:171]
	v_fma_f64 v[172:173], v[6:7], v[12:13], v[4:5]
	global_load_b128 v[12:15], v[8:9], off offset:112
	ds_load_b128 v[4:7], v86 offset:40960
	v_add_f64 v[97:98], v[162:163], -v[172:173]
	;; [unrolled: 11-line block ×3, first 2 shown]
	s_waitcnt vmcnt(0) lgkmcnt(0)
	v_mul_f64 v[8:9], v[6:7], v[12:13]
	scratch_store_b128 off, v[10:13], off offset:440 ; 16-byte Folded Spill
	v_fma_f64 v[180:181], v[4:5], v[10:11], -v[8:9]
	v_add_co_u32 v8, s26, s10, v0
	s_delay_alu instid0(VALU_DEP_1)
	v_add_co_ci_u32_e64 v9, null, s11, 0, s26
	v_mul_f64 v[4:5], v[4:5], v[12:13]
	v_and_b32_e32 v0, 0xffff, v65
	global_load_b128 v[12:15], v[8:9], off
	v_mul_u32_u24_e32 v0, 0x64, v0
	v_add_f64 v[91:92], v[28:29], -v[180:181]
	v_add_f64 v[118:119], v[170:171], -v[180:181]
	v_fma_f64 v[182:183], v[6:7], v[10:11], v[4:5]
	ds_load_b128 v[4:7], v86 offset:7680
	v_add_f64 v[95:96], v[34:35], -v[182:183]
	s_waitcnt vmcnt(0) lgkmcnt(0)
	v_mul_f64 v[10:11], v[6:7], v[14:15]
	scratch_store_b128 off, v[12:15], off offset:456 ; 16-byte Folded Spill
	v_fma_f64 v[40:41], v[4:5], v[12:13], -v[10:11]
	v_mul_f64 v[4:5], v[4:5], v[14:15]
	s_delay_alu instid0(VALU_DEP_1)
	v_fma_f64 v[42:43], v[6:7], v[12:13], v[4:5]
	global_load_b128 v[12:15], v[8:9], off offset:16
	ds_load_b128 v[4:7], v86 offset:12800
	s_waitcnt vmcnt(0) lgkmcnt(0)
	v_mul_f64 v[10:11], v[6:7], v[14:15]
	scratch_store_b128 off, v[12:15], off offset:472 ; 16-byte Folded Spill
	v_fma_f64 v[46:47], v[4:5], v[12:13], -v[10:11]
	v_mul_f64 v[4:5], v[4:5], v[14:15]
	s_delay_alu instid0(VALU_DEP_1)
	v_fma_f64 v[48:49], v[6:7], v[12:13], v[4:5]
	global_load_b128 v[12:15], v[8:9], off offset:32
	ds_load_b128 v[4:7], v86 offset:17920
	;; [unrolled: 9-line block ×5, first 2 shown]
	s_waitcnt vmcnt(0) lgkmcnt(0)
	v_mul_f64 v[10:11], v[6:7], v[14:15]
	scratch_store_b128 off, v[12:15], off offset:536 ; 16-byte Folded Spill
	v_fma_f64 v[60:61], v[4:5], v[12:13], -v[10:11]
	v_mul_f64 v[4:5], v[4:5], v[14:15]
	s_delay_alu instid0(VALU_DEP_2) | instskip(NEXT) | instid1(VALU_DEP_2)
	v_add_f64 v[124:125], v[52:53], -v[60:61]
	v_fma_f64 v[62:63], v[6:7], v[12:13], v[4:5]
	global_load_b128 v[12:15], v[8:9], off offset:96
	ds_load_b128 v[4:7], v86 offset:38400
	s_waitcnt vmcnt(0) lgkmcnt(0)
	v_mul_f64 v[10:11], v[6:7], v[14:15]
	scratch_store_b128 off, v[12:15], off offset:552 ; 16-byte Folded Spill
	v_fma_f64 v[152:153], v[4:5], v[12:13], -v[10:11]
	v_mul_f64 v[4:5], v[4:5], v[14:15]
	s_delay_alu instid0(VALU_DEP_1)
	v_fma_f64 v[154:155], v[6:7], v[12:13], v[4:5]
	global_load_b128 v[12:15], v[8:9], off offset:112
	ds_load_b128 v[4:7], v86 offset:43520
	s_waitcnt vmcnt(0) lgkmcnt(0)
	v_mul_f64 v[10:11], v[6:7], v[14:15]
	scratch_store_b128 off, v[12:15], off offset:568 ; 16-byte Folded Spill
	v_fma_f64 v[156:157], v[4:5], v[12:13], -v[10:11]
	v_mul_f64 v[4:5], v[4:5], v[14:15]
	s_delay_alu instid0(VALU_DEP_2) | instskip(NEXT) | instid1(VALU_DEP_2)
	v_add_f64 v[122:123], v[46:47], -v[156:157]
	v_fma_f64 v[158:159], v[6:7], v[12:13], v[4:5]
	global_load_b128 v[10:13], v[8:9], off offset:128
	ds_load_b128 v[4:7], v86 offset:48640
	s_waitcnt vmcnt(0) lgkmcnt(0)
	v_mul_f64 v[8:9], v[6:7], v[12:13]
	scratch_store_b128 off, v[10:13], off offset:584 ; 16-byte Folded Spill
	v_fma_f64 v[168:169], v[4:5], v[10:11], -v[8:9]
	v_mul_f64 v[4:5], v[4:5], v[12:13]
	v_add_f64 v[8:9], v[36:37], v[164:165]
	s_delay_alu instid0(VALU_DEP_2)
	v_fma_f64 v[174:175], v[6:7], v[10:11], v[4:5]
	ds_load_b128 v[4:7], v86
	v_add_f64 v[10:11], v[26:27], v[34:35]
	s_waitcnt lgkmcnt(0)
	v_fma_f64 v[184:185], v[8:9], -0.5, v[4:5]
	v_add_f64 v[8:9], v[30:31], v[176:177]
	s_delay_alu instid0(VALU_DEP_3) | instskip(NEXT) | instid1(VALU_DEP_2)
	v_add_f64 v[10:11], v[10:11], v[162:163]
	v_fma_f64 v[188:189], v[8:9], -0.5, v[4:5]
	v_add_f64 v[8:9], v[38:39], v[166:167]
	v_add_f64 v[4:5], v[4:5], v[30:31]
	s_delay_alu instid0(VALU_DEP_4) | instskip(NEXT) | instid1(VALU_DEP_3)
	v_add_f64 v[10:11], v[10:11], v[172:173]
	v_fma_f64 v[186:187], v[8:9], -0.5, v[6:7]
	v_add_f64 v[8:9], v[32:33], v[178:179]
	s_delay_alu instid0(VALU_DEP_4) | instskip(NEXT) | instid1(VALU_DEP_4)
	v_add_f64 v[4:5], v[4:5], v[36:37]
	v_add_f64 v[10:11], v[10:11], v[182:183]
	s_delay_alu instid0(VALU_DEP_3) | instskip(SKIP_3) | instid1(VALU_DEP_3)
	v_fma_f64 v[190:191], v[8:9], -0.5, v[6:7]
	v_add_f64 v[8:9], v[24:25], v[28:29]
	v_add_f64 v[6:7], v[6:7], v[32:33]
	;; [unrolled: 1-line block ×4, first 2 shown]
	s_delay_alu instid0(VALU_DEP_3) | instskip(NEXT) | instid1(VALU_DEP_3)
	v_add_f64 v[6:7], v[6:7], v[38:39]
	v_add_f64 v[12:13], v[4:5], v[176:177]
	s_delay_alu instid0(VALU_DEP_3) | instskip(NEXT) | instid1(VALU_DEP_3)
	v_add_f64 v[8:9], v[8:9], v[170:171]
	v_add_f64 v[6:7], v[6:7], v[166:167]
	s_delay_alu instid0(VALU_DEP_2) | instskip(NEXT) | instid1(VALU_DEP_2)
	v_add_f64 v[8:9], v[8:9], v[180:181]
	v_add_f64 v[14:15], v[6:7], v[178:179]
	s_delay_alu instid0(VALU_DEP_2) | instskip(SKIP_2) | instid1(VALU_DEP_4)
	v_add_f64 v[4:5], v[12:13], v[8:9]
	v_add_f64 v[192:193], v[12:13], -v[8:9]
	v_add_f64 v[12:13], v[52:53], v[60:61]
	v_add_f64 v[6:7], v[14:15], v[10:11]
	v_add_f64 v[194:195], v[14:15], -v[10:11]
	ds_load_b128 v[8:11], v86 offset:2560
	v_add_f64 v[14:15], v[42:43], v[50:51]
	s_waitcnt lgkmcnt(0)
	s_waitcnt_vscnt null, 0x0
	s_barrier
	buffer_gl0_inv
	v_fma_f64 v[74:75], v[12:13], -0.5, v[8:9]
	v_add_f64 v[12:13], v[46:47], v[156:157]
	v_add_f64 v[14:15], v[14:15], v[58:59]
	s_delay_alu instid0(VALU_DEP_2) | instskip(SKIP_2) | instid1(VALU_DEP_4)
	v_fma_f64 v[80:81], v[12:13], -0.5, v[8:9]
	v_add_f64 v[12:13], v[54:55], v[62:63]
	v_add_f64 v[8:9], v[8:9], v[46:47]
	v_add_f64 v[14:15], v[14:15], v[154:155]
	s_delay_alu instid0(VALU_DEP_3) | instskip(SKIP_1) | instid1(VALU_DEP_4)
	v_fma_f64 v[82:83], v[12:13], -0.5, v[10:11]
	v_add_f64 v[12:13], v[48:49], v[158:159]
	v_add_f64 v[8:9], v[8:9], v[52:53]
	s_delay_alu instid0(VALU_DEP_4) | instskip(NEXT) | instid1(VALU_DEP_4)
	v_add_f64 v[18:19], v[14:15], v[174:175]
	v_fma_f64 v[126:127], v[122:123], s[16:17], v[82:83]
	s_delay_alu instid0(VALU_DEP_4) | instskip(SKIP_4) | instid1(VALU_DEP_4)
	v_fma_f64 v[84:85], v[12:13], -0.5, v[10:11]
	v_add_f64 v[10:11], v[10:11], v[48:49]
	v_add_f64 v[12:13], v[40:41], v[44:45]
	;; [unrolled: 1-line block ×3, first 2 shown]
	v_fma_f64 v[126:127], v[124:125], s[8:9], v[126:127]
	v_add_f64 v[10:11], v[10:11], v[54:55]
	s_delay_alu instid0(VALU_DEP_4) | instskip(NEXT) | instid1(VALU_DEP_4)
	v_add_f64 v[12:13], v[12:13], v[56:57]
	v_add_f64 v[8:9], v[8:9], v[156:157]
	s_delay_alu instid0(VALU_DEP_3) | instskip(NEXT) | instid1(VALU_DEP_3)
	v_add_f64 v[10:11], v[10:11], v[62:63]
	v_add_f64 v[12:13], v[12:13], v[152:153]
	s_delay_alu instid0(VALU_DEP_2) | instskip(NEXT) | instid1(VALU_DEP_2)
	v_add_f64 v[10:11], v[10:11], v[158:159]
	v_add_f64 v[16:17], v[12:13], v[168:169]
	s_delay_alu instid0(VALU_DEP_2) | instskip(NEXT) | instid1(VALU_DEP_2)
	v_add_f64 v[14:15], v[10:11], v[18:19]
	v_add_f64 v[12:13], v[8:9], v[16:17]
	v_add_f64 v[8:9], v[8:9], -v[16:17]
	v_add_f64 v[10:11], v[10:11], -v[18:19]
	;; [unrolled: 1-line block ×6, first 2 shown]
	s_delay_alu instid0(VALU_DEP_3)
	v_add_f64 v[70:71], v[16:17], v[18:19]
	v_add_f64 v[16:17], v[32:33], -v[38:39]
	v_add_f64 v[18:19], v[178:179], -v[166:167]
	;; [unrolled: 1-line block ×4, first 2 shown]
	v_add_f64 v[36:37], v[30:31], v[36:37]
	s_delay_alu instid0(VALU_DEP_4)
	v_add_f64 v[72:73], v[16:17], v[18:19]
	v_add_f64 v[16:17], v[28:29], -v[160:161]
	v_add_f64 v[18:19], v[180:181], -v[170:171]
	v_add_f64 v[28:29], v[28:29], v[180:181]
	v_add_f64 v[32:33], v[32:33], v[38:39]
	;; [unrolled: 1-line block ×3, first 2 shown]
	s_delay_alu instid0(VALU_DEP_4) | instskip(SKIP_2) | instid1(VALU_DEP_1)
	v_add_f64 v[76:77], v[16:17], v[18:19]
	v_add_f64 v[16:17], v[34:35], -v[162:163]
	v_add_f64 v[18:19], v[182:183], -v[172:173]
	v_add_f64 v[78:79], v[16:17], v[18:19]
	v_add_f64 v[16:17], v[160:161], v[170:171]
	s_delay_alu instid0(VALU_DEP_1) | instskip(SKIP_1) | instid1(VALU_DEP_2)
	v_fma_f64 v[87:88], v[16:17], -0.5, v[24:25]
	v_add_f64 v[16:17], v[162:163], v[172:173]
	v_fma_f64 v[18:19], v[95:96], s[14:15], v[87:88]
	s_delay_alu instid0(VALU_DEP_2) | instskip(SKIP_1) | instid1(VALU_DEP_3)
	v_fma_f64 v[89:90], v[16:17], -0.5, v[26:27]
	v_fma_f64 v[87:88], v[95:96], s[16:17], v[87:88]
	v_fma_f64 v[18:19], v[97:98], s[2:3], v[18:19]
	s_delay_alu instid0(VALU_DEP_3) | instskip(SKIP_1) | instid1(VALU_DEP_4)
	v_fma_f64 v[16:17], v[91:92], s[16:17], v[89:90]
	v_fma_f64 v[89:90], v[91:92], s[14:15], v[89:90]
	;; [unrolled: 1-line block ×3, first 2 shown]
	s_delay_alu instid0(VALU_DEP_4) | instskip(NEXT) | instid1(VALU_DEP_4)
	v_fma_f64 v[18:19], v[76:77], s[12:13], v[18:19]
	v_fma_f64 v[16:17], v[93:94], s[8:9], v[16:17]
	s_delay_alu instid0(VALU_DEP_4) | instskip(NEXT) | instid1(VALU_DEP_4)
	v_fma_f64 v[89:90], v[93:94], s[2:3], v[89:90]
	v_fma_f64 v[76:77], v[76:77], s[12:13], v[87:88]
	s_delay_alu instid0(VALU_DEP_3) | instskip(NEXT) | instid1(VALU_DEP_1)
	v_fma_f64 v[16:17], v[78:79], s[12:13], v[16:17]
	v_mul_f64 v[20:21], v[16:17], s[2:3]
	s_delay_alu instid0(VALU_DEP_1) | instskip(SKIP_2) | instid1(VALU_DEP_2)
	v_fma_f64 v[100:101], v[18:19], s[22:23], v[20:21]
	v_mul_f64 v[18:19], v[18:19], s[8:9]
	v_fma_f64 v[20:21], v[110:111], s[16:17], v[186:187]
	v_fma_f64 v[18:19], v[16:17], s[22:23], v[18:19]
	;; [unrolled: 1-line block ×3, first 2 shown]
	s_delay_alu instid0(VALU_DEP_3) | instskip(NEXT) | instid1(VALU_DEP_2)
	v_fma_f64 v[20:21], v[112:113], s[8:9], v[20:21]
	v_fma_f64 v[16:17], v[108:109], s[2:3], v[16:17]
	s_delay_alu instid0(VALU_DEP_2) | instskip(NEXT) | instid1(VALU_DEP_2)
	v_fma_f64 v[114:115], v[72:73], s[12:13], v[20:21]
	v_fma_f64 v[16:17], v[70:71], s[12:13], v[16:17]
	s_delay_alu instid0(VALU_DEP_2) | instskip(SKIP_2) | instid1(VALU_DEP_4)
	v_add_f64 v[22:23], v[114:115], v[18:19]
	v_add_f64 v[18:19], v[114:115], -v[18:19]
	v_add_f64 v[114:115], v[172:173], -v[182:183]
	v_add_f64 v[20:21], v[16:17], v[100:101]
	v_add_f64 v[16:17], v[16:17], -v[100:101]
	v_add_f64 v[100:101], v[162:163], -v[34:35]
	v_add_f64 v[34:35], v[34:35], v[182:183]
	s_delay_alu instid0(VALU_DEP_2) | instskip(NEXT) | instid1(VALU_DEP_2)
	v_add_f64 v[100:101], v[100:101], v[114:115]
	v_fma_f64 v[34:35], v[34:35], -0.5, v[26:27]
	v_fma_f64 v[114:115], v[28:29], -0.5, v[24:25]
	s_delay_alu instid0(VALU_DEP_2) | instskip(NEXT) | instid1(VALU_DEP_2)
	v_fma_f64 v[24:25], v[93:94], s[14:15], v[34:35]
	v_fma_f64 v[26:27], v[97:98], s[16:17], v[114:115]
	;; [unrolled: 1-line block ×3, first 2 shown]
	v_add_f64 v[93:94], v[168:169], -v[152:153]
	s_delay_alu instid0(VALU_DEP_4) | instskip(NEXT) | instid1(VALU_DEP_4)
	v_fma_f64 v[24:25], v[91:92], s[8:9], v[24:25]
	v_fma_f64 v[26:27], v[95:96], s[2:3], v[26:27]
	s_delay_alu instid0(VALU_DEP_4) | instskip(NEXT) | instid1(VALU_DEP_3)
	v_fma_f64 v[34:35], v[91:92], s[2:3], v[34:35]
	v_fma_f64 v[24:25], v[100:101], s[12:13], v[24:25]
	s_delay_alu instid0(VALU_DEP_3) | instskip(NEXT) | instid1(VALU_DEP_3)
	v_fma_f64 v[26:27], v[38:39], s[12:13], v[26:27]
	v_fma_f64 v[34:35], v[100:101], s[12:13], v[34:35]
	s_delay_alu instid0(VALU_DEP_3) | instskip(NEXT) | instid1(VALU_DEP_1)
	v_mul_f64 v[28:29], v[24:25], s[14:15]
	v_fma_f64 v[116:117], v[26:27], s[12:13], v[28:29]
	v_mul_f64 v[26:27], v[26:27], s[16:17]
	v_fma_f64 v[28:29], v[112:113], s[14:15], v[190:191]
	s_delay_alu instid0(VALU_DEP_2) | instskip(SKIP_1) | instid1(VALU_DEP_3)
	v_fma_f64 v[26:27], v[24:25], s[12:13], v[26:27]
	v_fma_f64 v[24:25], v[108:109], s[16:17], v[188:189]
	;; [unrolled: 1-line block ×3, first 2 shown]
	s_delay_alu instid0(VALU_DEP_2) | instskip(NEXT) | instid1(VALU_DEP_2)
	v_fma_f64 v[24:25], v[102:103], s[2:3], v[24:25]
	v_fma_f64 v[118:119], v[32:33], s[12:13], v[28:29]
	s_delay_alu instid0(VALU_DEP_2) | instskip(NEXT) | instid1(VALU_DEP_2)
	v_fma_f64 v[24:25], v[36:37], s[12:13], v[24:25]
	v_add_f64 v[30:31], v[118:119], v[26:27]
	v_add_f64 v[26:27], v[118:119], -v[26:27]
	s_delay_alu instid0(VALU_DEP_3) | instskip(SKIP_2) | instid1(VALU_DEP_1)
	v_add_f64 v[28:29], v[24:25], v[116:117]
	v_add_f64 v[24:25], v[24:25], -v[116:117]
	v_fma_f64 v[116:117], v[108:109], s[14:15], v[188:189]
	v_fma_f64 v[116:117], v[102:103], s[8:9], v[116:117]
	s_delay_alu instid0(VALU_DEP_1) | instskip(SKIP_1) | instid1(VALU_DEP_1)
	v_fma_f64 v[116:117], v[36:37], s[12:13], v[116:117]
	v_fma_f64 v[36:37], v[112:113], s[16:17], v[190:191]
	;; [unrolled: 1-line block ×3, first 2 shown]
	s_delay_alu instid0(VALU_DEP_1) | instskip(SKIP_2) | instid1(VALU_DEP_2)
	v_fma_f64 v[118:119], v[32:33], s[12:13], v[36:37]
	v_fma_f64 v[32:33], v[97:98], s[14:15], v[114:115]
	v_add_f64 v[97:98], v[58:59], v[154:155]
	v_fma_f64 v[32:33], v[95:96], s[8:9], v[32:33]
	v_fma_f64 v[95:96], v[102:103], s[16:17], v[184:185]
	s_delay_alu instid0(VALU_DEP_3) | instskip(SKIP_1) | instid1(VALU_DEP_4)
	v_fma_f64 v[97:98], v[97:98], -0.5, v[42:43]
	v_add_f64 v[102:103], v[56:57], -v[152:153]
	v_fma_f64 v[32:33], v[38:39], s[12:13], v[32:33]
	s_delay_alu instid0(VALU_DEP_4) | instskip(NEXT) | instid1(VALU_DEP_2)
	v_fma_f64 v[91:92], v[108:109], s[8:9], v[95:96]
	v_mul_f64 v[36:37], v[32:33], s[18:19]
	s_delay_alu instid0(VALU_DEP_2) | instskip(SKIP_1) | instid1(VALU_DEP_3)
	v_fma_f64 v[87:88], v[70:71], s[12:13], v[91:92]
	v_fma_f64 v[70:71], v[78:79], s[12:13], v[89:90]
	;; [unrolled: 1-line block ×3, first 2 shown]
	v_mul_f64 v[34:35], v[34:35], s[18:19]
	s_delay_alu instid0(VALU_DEP_2) | instskip(NEXT) | instid1(VALU_DEP_2)
	v_add_f64 v[36:37], v[116:117], v[100:101]
	v_fma_f64 v[34:35], v[32:33], s[16:17], v[34:35]
	v_add_f64 v[32:33], v[116:117], -v[100:101]
	v_fma_f64 v[100:101], v[110:111], s[14:15], v[186:187]
	v_add_f64 v[110:111], v[50:51], -v[174:175]
	s_delay_alu instid0(VALU_DEP_4) | instskip(SKIP_1) | instid1(VALU_DEP_4)
	v_add_f64 v[38:39], v[118:119], v[34:35]
	v_add_f64 v[34:35], v[118:119], -v[34:35]
	v_fma_f64 v[95:96], v[112:113], s[2:3], v[100:101]
	v_add_f64 v[100:101], v[44:45], -v[168:169]
	v_add_f64 v[112:113], v[58:59], -v[154:155]
	;; [unrolled: 1-line block ×3, first 2 shown]
	s_delay_alu instid0(VALU_DEP_4) | instskip(SKIP_3) | instid1(VALU_DEP_3)
	v_fma_f64 v[91:92], v[72:73], s[12:13], v[95:96]
	v_mul_f64 v[72:73], v[76:77], s[20:21]
	v_add_f64 v[95:96], v[174:175], -v[154:155]
	v_fma_f64 v[108:109], v[100:101], s[16:17], v[97:98]
	v_fma_f64 v[78:79], v[70:71], s[2:3], v[72:73]
	v_mul_f64 v[70:71], v[70:71], s[20:21]
	s_delay_alu instid0(VALU_DEP_3) | instskip(NEXT) | instid1(VALU_DEP_2)
	v_fma_f64 v[108:109], v[102:103], s[8:9], v[108:109]
	v_fma_f64 v[89:90], v[76:77], s[8:9], v[70:71]
	s_delay_alu instid0(VALU_DEP_4)
	v_add_f64 v[70:71], v[87:88], v[78:79]
	v_add_f64 v[76:77], v[87:88], -v[78:79]
	v_add_f64 v[87:88], v[46:47], -v[52:53]
	;; [unrolled: 1-line block ×4, first 2 shown]
	v_add_f64 v[72:73], v[91:92], v[89:90]
	v_add_f64 v[78:79], v[91:92], -v[89:90]
	v_add_f64 v[89:90], v[156:157], -v[60:61]
	;; [unrolled: 1-line block ×4, first 2 shown]
	v_add_f64 v[52:53], v[46:47], v[52:53]
	s_delay_alu instid0(VALU_DEP_4) | instskip(SKIP_1) | instid1(VALU_DEP_1)
	v_add_f64 v[87:88], v[87:88], v[89:90]
	v_add_f64 v[89:90], v[48:49], -v[54:55]
	v_add_f64 v[89:90], v[89:90], v[91:92]
	v_add_f64 v[91:92], v[44:45], -v[56:57]
	s_delay_alu instid0(VALU_DEP_2) | instskip(NEXT) | instid1(VALU_DEP_2)
	v_fma_f64 v[126:127], v[89:90], s[12:13], v[126:127]
	v_add_f64 v[91:92], v[91:92], v[93:94]
	v_add_f64 v[93:94], v[50:51], -v[58:59]
	v_add_f64 v[58:59], v[58:59], -v[50:51]
	v_add_f64 v[50:51], v[50:51], v[174:175]
	s_delay_alu instid0(VALU_DEP_3)
	v_add_f64 v[93:94], v[93:94], v[95:96]
	v_add_f64 v[95:96], v[56:57], v[152:153]
	v_add_f64 v[56:57], v[56:57], -v[44:45]
	v_add_f64 v[44:45], v[44:45], v[168:169]
	v_fma_f64 v[50:51], v[50:51], -0.5, v[42:43]
	v_fma_f64 v[108:109], v[93:94], s[12:13], v[108:109]
	v_fma_f64 v[95:96], v[95:96], -0.5, v[40:41]
	s_delay_alu instid0(VALU_DEP_2) | instskip(NEXT) | instid1(VALU_DEP_2)
	v_mul_f64 v[116:117], v[108:109], s[2:3]
	v_fma_f64 v[114:115], v[110:111], s[14:15], v[95:96]
	s_delay_alu instid0(VALU_DEP_1) | instskip(NEXT) | instid1(VALU_DEP_1)
	v_fma_f64 v[114:115], v[112:113], s[2:3], v[114:115]
	v_fma_f64 v[114:115], v[91:92], s[12:13], v[114:115]
	s_delay_alu instid0(VALU_DEP_1) | instskip(SKIP_1) | instid1(VALU_DEP_1)
	v_fma_f64 v[116:117], v[114:115], s[22:23], v[116:117]
	v_mul_f64 v[114:115], v[114:115], s[8:9]
	v_fma_f64 v[108:109], v[108:109], s[22:23], v[114:115]
	v_add_f64 v[114:115], v[48:49], -v[158:159]
	v_add_f64 v[48:49], v[54:55], -v[48:49]
	;; [unrolled: 1-line block ×4, first 2 shown]
	v_add_f64 v[162:163], v[126:127], v[108:109]
	v_fma_f64 v[120:121], v[114:115], s[14:15], v[74:75]
	v_add_f64 v[166:167], v[126:127], -v[108:109]
	v_add_f64 v[48:49], v[48:49], v[54:55]
	v_add_f64 v[54:55], v[56:57], v[62:63]
	;; [unrolled: 1-line block ×3, first 2 shown]
	v_fma_f64 v[58:59], v[44:45], -0.5, v[40:41]
	v_fma_f64 v[40:41], v[102:103], s[14:15], v[50:51]
	v_fma_f64 v[50:51], v[102:103], s[16:17], v[50:51]
	;; [unrolled: 1-line block ×3, first 2 shown]
	s_delay_alu instid0(VALU_DEP_4) | instskip(NEXT) | instid1(VALU_DEP_4)
	v_fma_f64 v[42:43], v[112:113], s[16:17], v[58:59]
	v_fma_f64 v[40:41], v[100:101], s[8:9], v[40:41]
	s_delay_alu instid0(VALU_DEP_4) | instskip(NEXT) | instid1(VALU_DEP_4)
	v_fma_f64 v[50:51], v[100:101], s[2:3], v[50:51]
	v_fma_f64 v[120:121], v[87:88], s[12:13], v[120:121]
	s_delay_alu instid0(VALU_DEP_4) | instskip(NEXT) | instid1(VALU_DEP_4)
	v_fma_f64 v[42:43], v[110:111], s[2:3], v[42:43]
	v_fma_f64 v[40:41], v[56:57], s[12:13], v[40:41]
	s_delay_alu instid0(VALU_DEP_4) | instskip(NEXT) | instid1(VALU_DEP_4)
	v_fma_f64 v[50:51], v[56:57], s[12:13], v[50:51]
	v_add_f64 v[160:161], v[120:121], v[116:117]
	v_add_f64 v[164:165], v[120:121], -v[116:117]
	v_fma_f64 v[42:43], v[54:55], s[12:13], v[42:43]
	v_mul_f64 v[44:45], v[40:41], s[14:15]
	s_delay_alu instid0(VALU_DEP_1) | instskip(SKIP_1) | instid1(VALU_DEP_1)
	v_fma_f64 v[44:45], v[42:43], s[12:13], v[44:45]
	v_mul_f64 v[42:43], v[42:43], s[16:17]
	v_fma_f64 v[46:47], v[40:41], s[12:13], v[42:43]
	v_fma_f64 v[40:41], v[118:119], s[16:17], v[80:81]
	;; [unrolled: 1-line block ×3, first 2 shown]
	s_delay_alu instid0(VALU_DEP_2) | instskip(NEXT) | instid1(VALU_DEP_2)
	v_fma_f64 v[40:41], v[114:115], s[2:3], v[40:41]
	v_fma_f64 v[42:43], v[122:123], s[8:9], v[42:43]
	s_delay_alu instid0(VALU_DEP_2) | instskip(NEXT) | instid1(VALU_DEP_2)
	v_fma_f64 v[60:61], v[52:53], s[12:13], v[40:41]
	v_fma_f64 v[62:63], v[48:49], s[12:13], v[42:43]
	s_delay_alu instid0(VALU_DEP_2) | instskip(SKIP_2) | instid1(VALU_DEP_4)
	v_add_f64 v[40:41], v[60:61], v[44:45]
	v_add_f64 v[44:45], v[60:61], -v[44:45]
	v_fma_f64 v[60:61], v[118:119], s[14:15], v[80:81]
	v_add_f64 v[42:43], v[62:63], v[46:47]
	v_add_f64 v[46:47], v[62:63], -v[46:47]
	v_fma_f64 v[62:63], v[100:101], s[14:15], v[97:98]
	s_delay_alu instid0(VALU_DEP_4) | instskip(NEXT) | instid1(VALU_DEP_2)
	v_fma_f64 v[60:61], v[114:115], s[8:9], v[60:61]
	v_fma_f64 v[62:63], v[102:103], s[2:3], v[62:63]
	s_delay_alu instid0(VALU_DEP_2) | instskip(SKIP_1) | instid1(VALU_DEP_1)
	v_fma_f64 v[52:53], v[52:53], s[12:13], v[60:61]
	v_fma_f64 v[60:61], v[124:125], s[16:17], v[84:85]
	;; [unrolled: 1-line block ×3, first 2 shown]
	s_delay_alu instid0(VALU_DEP_1) | instskip(SKIP_2) | instid1(VALU_DEP_2)
	v_fma_f64 v[60:61], v[48:49], s[12:13], v[60:61]
	v_fma_f64 v[48:49], v[112:113], s[14:15], v[58:59]
	;; [unrolled: 1-line block ×4, first 2 shown]
	s_delay_alu instid0(VALU_DEP_2) | instskip(NEXT) | instid1(VALU_DEP_2)
	v_fma_f64 v[58:59], v[118:119], s[8:9], v[58:59]
	v_fma_f64 v[48:49], v[54:55], s[12:13], v[48:49]
	s_delay_alu instid0(VALU_DEP_2) | instskip(SKIP_1) | instid1(VALU_DEP_3)
	v_fma_f64 v[74:75], v[87:88], s[12:13], v[58:59]
	v_fma_f64 v[58:59], v[93:94], s[12:13], v[62:63]
	v_mul_f64 v[54:55], v[48:49], s[18:19]
	s_delay_alu instid0(VALU_DEP_1) | instskip(SKIP_1) | instid1(VALU_DEP_1)
	v_fma_f64 v[54:55], v[50:51], s[14:15], v[54:55]
	v_mul_f64 v[50:51], v[50:51], s[18:19]
	v_fma_f64 v[56:57], v[48:49], s[16:17], v[50:51]
	s_delay_alu instid0(VALU_DEP_3) | instskip(SKIP_1) | instid1(VALU_DEP_3)
	v_add_f64 v[48:49], v[52:53], v[54:55]
	v_add_f64 v[52:53], v[52:53], -v[54:55]
	v_add_f64 v[50:51], v[60:61], v[56:57]
	v_add_f64 v[54:55], v[60:61], -v[56:57]
	v_fma_f64 v[56:57], v[110:111], s[16:17], v[95:96]
	v_fma_f64 v[60:61], v[122:123], s[14:15], v[82:83]
	s_delay_alu instid0(VALU_DEP_2) | instskip(NEXT) | instid1(VALU_DEP_2)
	v_fma_f64 v[56:57], v[112:113], s[8:9], v[56:57]
	v_fma_f64 v[60:61], v[124:125], s[2:3], v[60:61]
	s_delay_alu instid0(VALU_DEP_2) | instskip(NEXT) | instid1(VALU_DEP_2)
	v_fma_f64 v[56:57], v[91:92], s[12:13], v[56:57]
	v_fma_f64 v[80:81], v[89:90], s[12:13], v[60:61]
	s_delay_alu instid0(VALU_DEP_2) | instskip(NEXT) | instid1(VALU_DEP_1)
	v_mul_f64 v[60:61], v[56:57], s[20:21]
	v_fma_f64 v[60:61], v[58:59], s[2:3], v[60:61]
	v_mul_f64 v[58:59], v[58:59], s[20:21]
	s_delay_alu instid0(VALU_DEP_1) | instskip(NEXT) | instid1(VALU_DEP_3)
	v_fma_f64 v[62:63], v[56:57], s[8:9], v[58:59]
	v_add_f64 v[56:57], v[74:75], v[60:61]
	v_add_f64 v[60:61], v[74:75], -v[60:61]
	v_add_lshl_u32 v75, v0, v3, 4
	v_mad_u16 v0, 0x64, v66, v67
	ds_store_b128 v75, v[4:7]
	ds_store_b128 v75, v[192:195] offset:800
	ds_store_b128 v75, v[20:23] offset:160
	;; [unrolled: 1-line block ×9, first 2 shown]
	v_and_b32_e32 v0, 0xffff, v0
	s_delay_alu instid0(VALU_DEP_1) | instskip(SKIP_1) | instid1(VALU_DEP_1)
	v_lshlrev_b32_e32 v136, 4, v0
	v_add_nc_u32_e32 v0, 0xffffff9c, v196
	v_cndmask_b32_e32 v3, v0, v196, vcc_lo
	s_delay_alu instid0(VALU_DEP_1)
	v_mul_i32_i24_e32 v0, 48, v3
	v_mul_hi_i32_i24_e32 v4, 48, v3
	v_add_f64 v[58:59], v[80:81], v[62:63]
	v_add_f64 v[62:63], v[80:81], -v[62:63]
	ds_store_b128 v136, v[12:15]
	ds_store_b128 v136, v[160:163] offset:160
	ds_store_b128 v136, v[40:43] offset:320
	;; [unrolled: 1-line block ×9, first 2 shown]
	v_add_co_u32 v8, vcc_lo, s10, v0
	v_add_co_ci_u32_e32 v9, vcc_lo, s11, v4, vcc_lo
	s_waitcnt lgkmcnt(0)
	s_barrier
	buffer_gl0_inv
	global_load_b128 v[12:15], v[8:9], off offset:1440
	ds_load_b128 v[4:7], v86 offset:12800
	v_lshrrev_b16 v0, 2, v2
	v_cmp_lt_u16_e32 vcc_lo, 0x63, v1
	s_delay_alu instid0(VALU_DEP_2) | instskip(NEXT) | instid1(VALU_DEP_1)
	v_and_b32_e32 v0, 0xffff, v0
	v_mul_u32_u24_e32 v0, 0x147b, v0
	s_delay_alu instid0(VALU_DEP_1)
	v_lshrrev_b32_e32 v0, 17, v0
	s_waitcnt vmcnt(0) lgkmcnt(0)
	v_mul_f64 v[10:11], v[6:7], v[14:15]
	scratch_store_b128 off, v[12:15], off offset:696 ; 16-byte Folded Spill
	v_fma_f64 v[28:29], v[4:5], v[12:13], -v[10:11]
	v_mul_f64 v[4:5], v[4:5], v[14:15]
	s_delay_alu instid0(VALU_DEP_1)
	v_fma_f64 v[30:31], v[6:7], v[12:13], v[4:5]
	global_load_b128 v[12:15], v[8:9], off offset:1456
	ds_load_b128 v[4:7], v86 offset:25600
	s_waitcnt vmcnt(0) lgkmcnt(0)
	v_mul_f64 v[10:11], v[6:7], v[14:15]
	scratch_store_b128 off, v[12:15], off offset:712 ; 16-byte Folded Spill
	v_fma_f64 v[10:11], v[4:5], v[12:13], -v[10:11]
	v_mul_f64 v[4:5], v[4:5], v[14:15]
	global_load_b128 v[14:17], v[8:9], off offset:1472
	v_fma_f64 v[12:13], v[6:7], v[12:13], v[4:5]
	ds_load_b128 v[4:7], v86 offset:38400
	s_waitcnt vmcnt(0) lgkmcnt(0)
	v_mul_f64 v[8:9], v[6:7], v[16:17]
	scratch_store_b128 off, v[14:17], off offset:728 ; 16-byte Folded Spill
	v_fma_f64 v[8:9], v[4:5], v[14:15], -v[8:9]
	v_mul_f64 v[4:5], v[4:5], v[16:17]
	s_delay_alu instid0(VALU_DEP_2) | instskip(NEXT) | instid1(VALU_DEP_2)
	v_add_f64 v[91:92], v[28:29], -v[8:9]
	v_fma_f64 v[14:15], v[6:7], v[14:15], v[4:5]
	v_mul_lo_u16 v4, 0x64, v0
	s_delay_alu instid0(VALU_DEP_1) | instskip(SKIP_3) | instid1(VALU_DEP_2)
	v_sub_nc_u16 v68, v2, v4
	ds_load_b128 v[4:7], v86 offset:15360
	v_mul_lo_u16 v2, v68, 48
	v_mad_u16 v0, 0x190, v0, v68
	v_and_b32_e32 v2, 0xffff, v2
	s_delay_alu instid0(VALU_DEP_2) | instskip(NEXT) | instid1(VALU_DEP_2)
	v_and_b32_e32 v0, 0xffff, v0
	v_add_co_u32 v16, s26, s10, v2
	s_delay_alu instid0(VALU_DEP_1) | instskip(SKIP_1) | instid1(VALU_DEP_4)
	v_add_co_ci_u32_e64 v17, null, s11, 0, s26
	v_add_co_u32 v2, null, 0x140, v196
	v_lshlrev_b32_e32 v0, 4, v0
	s_clause 0x2
	global_load_b128 v[20:23], v[16:17], off offset:1440
	global_load_b128 v[208:211], v[16:17], off offset:1456
	;; [unrolled: 1-line block ×3, first 2 shown]
	v_add_f64 v[89:90], v[30:31], -v[14:15]
	s_waitcnt vmcnt(2) lgkmcnt(0)
	v_mul_f64 v[18:19], v[6:7], v[22:23]
	scratch_store_b128 off, v[20:23], off offset:744 ; 16-byte Folded Spill
	v_fma_f64 v[32:33], v[4:5], v[20:21], -v[18:19]
	v_mul_f64 v[4:5], v[4:5], v[22:23]
	s_delay_alu instid0(VALU_DEP_1) | instskip(SKIP_3) | instid1(VALU_DEP_1)
	v_fma_f64 v[34:35], v[6:7], v[20:21], v[4:5]
	ds_load_b128 v[4:7], v86 offset:28160
	s_waitcnt vmcnt(1) lgkmcnt(0)
	v_mul_f64 v[18:19], v[6:7], v[210:211]
	v_fma_f64 v[36:37], v[4:5], v[208:209], -v[18:19]
	v_mul_f64 v[4:5], v[4:5], v[210:211]
	s_delay_alu instid0(VALU_DEP_1) | instskip(SKIP_3) | instid1(VALU_DEP_1)
	v_fma_f64 v[38:39], v[6:7], v[208:209], v[4:5]
	ds_load_b128 v[4:7], v86 offset:40960
	s_waitcnt vmcnt(0) lgkmcnt(0)
	v_mul_f64 v[16:17], v[6:7], v[214:215]
	v_fma_f64 v[40:41], v[4:5], v[212:213], -v[16:17]
	v_mul_f64 v[4:5], v[4:5], v[214:215]
	s_delay_alu instid0(VALU_DEP_1) | instskip(SKIP_1) | instid1(VALU_DEP_1)
	v_fma_f64 v[42:43], v[6:7], v[212:213], v[4:5]
	v_lshrrev_b16 v4, 2, v2
	v_and_b32_e32 v4, 0xffff, v4
	s_delay_alu instid0(VALU_DEP_1) | instskip(NEXT) | instid1(VALU_DEP_1)
	v_mul_u32_u24_e32 v4, 0x147b, v4
	v_lshrrev_b32_e32 v69, 17, v4
	s_delay_alu instid0(VALU_DEP_1) | instskip(NEXT) | instid1(VALU_DEP_1)
	v_mul_lo_u16 v4, 0x64, v69
	v_sub_nc_u16 v74, v2, v4
	s_delay_alu instid0(VALU_DEP_1) | instskip(NEXT) | instid1(VALU_DEP_1)
	v_mul_lo_u16 v4, v74, 48
	v_and_b32_e32 v4, 0xffff, v4
	s_delay_alu instid0(VALU_DEP_1) | instskip(NEXT) | instid1(VALU_DEP_1)
	v_add_co_u32 v16, s26, s10, v4
	v_add_co_ci_u32_e64 v17, null, s11, 0, s26
	ds_load_b128 v[4:7], v86 offset:17920
	s_clause 0x2
	global_load_b128 v[216:219], v[16:17], off offset:1440
	global_load_b128 v[220:223], v[16:17], off offset:1456
	;; [unrolled: 1-line block ×3, first 2 shown]
	s_waitcnt vmcnt(2) lgkmcnt(0)
	v_mul_f64 v[18:19], v[6:7], v[218:219]
	s_delay_alu instid0(VALU_DEP_1) | instskip(SKIP_1) | instid1(VALU_DEP_1)
	v_fma_f64 v[44:45], v[4:5], v[216:217], -v[18:19]
	v_mul_f64 v[4:5], v[4:5], v[218:219]
	v_fma_f64 v[46:47], v[6:7], v[216:217], v[4:5]
	ds_load_b128 v[4:7], v86 offset:30720
	s_waitcnt vmcnt(1) lgkmcnt(0)
	v_mul_f64 v[18:19], v[6:7], v[222:223]
	s_delay_alu instid0(VALU_DEP_1) | instskip(SKIP_1) | instid1(VALU_DEP_1)
	v_fma_f64 v[48:49], v[4:5], v[220:221], -v[18:19]
	v_mul_f64 v[4:5], v[4:5], v[222:223]
	v_fma_f64 v[50:51], v[6:7], v[220:221], v[4:5]
	ds_load_b128 v[4:7], v86 offset:43520
	s_waitcnt vmcnt(0) lgkmcnt(0)
	v_mul_f64 v[16:17], v[6:7], v[226:227]
	s_delay_alu instid0(VALU_DEP_1) | instskip(SKIP_1) | instid1(VALU_DEP_1)
	v_fma_f64 v[52:53], v[4:5], v[224:225], -v[16:17]
	v_mul_f64 v[4:5], v[4:5], v[226:227]
	v_fma_f64 v[54:55], v[6:7], v[224:225], v[4:5]
	v_add_nc_u16 v4, v1, 0x1e0
	s_delay_alu instid0(VALU_DEP_1) | instskip(NEXT) | instid1(VALU_DEP_1)
	v_lshrrev_b16 v5, 2, v4
	v_and_b32_e32 v5, 0xffff, v5
	s_delay_alu instid0(VALU_DEP_1) | instskip(NEXT) | instid1(VALU_DEP_1)
	v_mul_u32_u24_e32 v5, 0x147b, v5
	v_lshrrev_b32_e32 v93, 17, v5
	s_delay_alu instid0(VALU_DEP_1) | instskip(NEXT) | instid1(VALU_DEP_1)
	v_mul_lo_u16 v5, 0x64, v93
	v_sub_nc_u16 v94, v4, v5
	s_delay_alu instid0(VALU_DEP_1) | instskip(NEXT) | instid1(VALU_DEP_1)
	v_mul_lo_u16 v4, v94, 48
	v_and_b32_e32 v4, 0xffff, v4
	s_delay_alu instid0(VALU_DEP_1) | instskip(NEXT) | instid1(VALU_DEP_1)
	v_add_co_u32 v16, s26, s10, v4
	v_add_co_ci_u32_e64 v17, null, s11, 0, s26
	ds_load_b128 v[4:7], v86 offset:20480
	s_clause 0x2
	global_load_b128 v[236:239], v[16:17], off offset:1472
	global_load_b128 v[228:231], v[16:17], off offset:1440
	;; [unrolled: 1-line block ×3, first 2 shown]
	s_waitcnt vmcnt(1) lgkmcnt(0)
	v_mul_f64 v[18:19], v[6:7], v[230:231]
	s_delay_alu instid0(VALU_DEP_1) | instskip(SKIP_1) | instid1(VALU_DEP_1)
	v_fma_f64 v[56:57], v[4:5], v[228:229], -v[18:19]
	v_mul_f64 v[4:5], v[4:5], v[230:231]
	v_fma_f64 v[58:59], v[6:7], v[228:229], v[4:5]
	ds_load_b128 v[4:7], v86 offset:33280
	s_waitcnt vmcnt(0) lgkmcnt(0)
	v_mul_f64 v[18:19], v[6:7], v[234:235]
	s_delay_alu instid0(VALU_DEP_1) | instskip(SKIP_1) | instid1(VALU_DEP_1)
	v_fma_f64 v[60:61], v[4:5], v[232:233], -v[18:19]
	v_mul_f64 v[4:5], v[4:5], v[234:235]
	v_fma_f64 v[62:63], v[6:7], v[232:233], v[4:5]
	ds_load_b128 v[4:7], v86 offset:46080
	s_waitcnt lgkmcnt(0)
	v_mul_f64 v[16:17], v[6:7], v[238:239]
	s_delay_alu instid0(VALU_DEP_1) | instskip(SKIP_1) | instid1(VALU_DEP_1)
	v_fma_f64 v[64:65], v[4:5], v[236:237], -v[16:17]
	v_mul_f64 v[4:5], v[4:5], v[238:239]
	v_fma_f64 v[66:67], v[6:7], v[236:237], v[4:5]
	v_add_nc_u16 v4, v1, 0x280
	s_delay_alu instid0(VALU_DEP_1) | instskip(NEXT) | instid1(VALU_DEP_1)
	v_lshrrev_b16 v5, 2, v4
	v_and_b32_e32 v5, 0xffff, v5
	s_delay_alu instid0(VALU_DEP_1) | instskip(NEXT) | instid1(VALU_DEP_1)
	v_mul_u32_u24_e32 v5, 0x147b, v5
	v_lshrrev_b32_e32 v95, 17, v5
	s_delay_alu instid0(VALU_DEP_1) | instskip(NEXT) | instid1(VALU_DEP_1)
	v_mul_lo_u16 v5, 0x64, v95
	v_sub_nc_u16 v96, v4, v5
	s_delay_alu instid0(VALU_DEP_1) | instskip(NEXT) | instid1(VALU_DEP_1)
	v_mul_lo_u16 v4, v96, 48
	v_and_b32_e32 v4, 0xffff, v4
	s_delay_alu instid0(VALU_DEP_1) | instskip(NEXT) | instid1(VALU_DEP_1)
	v_add_co_u32 v16, s26, s10, v4
	v_add_co_ci_u32_e64 v17, null, s11, 0, s26
	ds_load_b128 v[4:7], v86 offset:23040
	s_clause 0x2
	global_load_b128 v[240:243], v[16:17], off offset:1440
	global_load_b128 v[248:251], v[16:17], off offset:1456
	;; [unrolled: 1-line block ×3, first 2 shown]
	s_waitcnt vmcnt(2) lgkmcnt(0)
	v_mul_f64 v[18:19], v[6:7], v[242:243]
	s_delay_alu instid0(VALU_DEP_1) | instskip(SKIP_1) | instid1(VALU_DEP_1)
	v_fma_f64 v[70:71], v[4:5], v[240:241], -v[18:19]
	v_mul_f64 v[4:5], v[4:5], v[242:243]
	v_fma_f64 v[72:73], v[6:7], v[240:241], v[4:5]
	ds_load_b128 v[4:7], v86 offset:35840
	s_waitcnt vmcnt(1) lgkmcnt(0)
	v_mul_f64 v[18:19], v[6:7], v[250:251]
	s_delay_alu instid0(VALU_DEP_1) | instskip(SKIP_1) | instid1(VALU_DEP_1)
	v_fma_f64 v[76:77], v[4:5], v[248:249], -v[18:19]
	v_mul_f64 v[4:5], v[4:5], v[250:251]
	v_fma_f64 v[78:79], v[6:7], v[248:249], v[4:5]
	ds_load_b128 v[4:7], v86 offset:48640
	s_waitcnt vmcnt(0) lgkmcnt(0)
	v_mul_f64 v[16:17], v[6:7], v[254:255]
	s_delay_alu instid0(VALU_DEP_1) | instskip(SKIP_1) | instid1(VALU_DEP_1)
	v_fma_f64 v[80:81], v[4:5], v[252:253], -v[16:17]
	v_mul_f64 v[4:5], v[4:5], v[254:255]
	v_fma_f64 v[82:83], v[6:7], v[252:253], v[4:5]
	ds_load_b128 v[4:7], v86
	s_waitcnt lgkmcnt(0)
	v_add_f64 v[10:11], v[4:5], -v[10:11]
	v_add_f64 v[12:13], v[6:7], -v[12:13]
	s_delay_alu instid0(VALU_DEP_2) | instskip(NEXT) | instid1(VALU_DEP_2)
	v_fma_f64 v[84:85], v[4:5], 2.0, -v[10:11]
	v_fma_f64 v[87:88], v[6:7], 2.0, -v[12:13]
	v_add_f64 v[4:5], v[10:11], -v[89:90]
	v_add_f64 v[6:7], v[12:13], v[91:92]
	s_delay_alu instid0(VALU_DEP_2) | instskip(NEXT) | instid1(VALU_DEP_2)
	v_fma_f64 v[8:9], v[10:11], 2.0, -v[4:5]
	v_fma_f64 v[10:11], v[12:13], 2.0, -v[6:7]
	v_cndmask_b32_e64 v12, 0, 0x190, vcc_lo
	s_delay_alu instid0(VALU_DEP_1)
	v_add_lshl_u32 v124, v3, v12, 4
	ds_load_b128 v[12:15], v86 offset:2560
	ds_load_b128 v[16:19], v86 offset:5120
	;; [unrolled: 1-line block ×4, first 2 shown]
	s_waitcnt lgkmcnt(0)
	s_waitcnt_vscnt null, 0x0
	s_barrier
	buffer_gl0_inv
	ds_store_b128 v124, v[4:7] offset:4800
	v_fma_f64 v[3:4], v[28:29], 2.0, -v[91:92]
	v_fma_f64 v[5:6], v[30:31], 2.0, -v[89:90]
	s_delay_alu instid0(VALU_DEP_2) | instskip(NEXT) | instid1(VALU_DEP_2)
	v_add_f64 v[3:4], v[84:85], -v[3:4]
	v_add_f64 v[5:6], v[87:88], -v[5:6]
	s_delay_alu instid0(VALU_DEP_2) | instskip(NEXT) | instid1(VALU_DEP_2)
	v_fma_f64 v[28:29], v[84:85], 2.0, -v[3:4]
	v_fma_f64 v[30:31], v[87:88], 2.0, -v[5:6]
	ds_store_b128 v124, v[3:6] offset:3200
	ds_store_b128 v124, v[8:11] offset:1600
	ds_store_b128 v124, v[28:31]
	v_add_f64 v[28:29], v[12:13], -v[36:37]
	v_add_f64 v[30:31], v[14:15], -v[38:39]
	scratch_store_b32 off, v0, off offset:772 ; 4-byte Folded Spill
	v_fma_f64 v[7:8], v[12:13], 2.0, -v[28:29]
	v_fma_f64 v[9:10], v[14:15], 2.0, -v[30:31]
	v_add_f64 v[11:12], v[32:33], -v[40:41]
	v_add_f64 v[13:14], v[34:35], -v[42:43]
	s_delay_alu instid0(VALU_DEP_2) | instskip(NEXT) | instid1(VALU_DEP_2)
	v_fma_f64 v[3:4], v[32:33], 2.0, -v[11:12]
	v_fma_f64 v[5:6], v[34:35], 2.0, -v[13:14]
	s_delay_alu instid0(VALU_DEP_2) | instskip(NEXT) | instid1(VALU_DEP_2)
	v_add_f64 v[3:4], v[7:8], -v[3:4]
	v_add_f64 v[5:6], v[9:10], -v[5:6]
	s_delay_alu instid0(VALU_DEP_2) | instskip(NEXT) | instid1(VALU_DEP_2)
	v_fma_f64 v[7:8], v[7:8], 2.0, -v[3:4]
	v_fma_f64 v[9:10], v[9:10], 2.0, -v[5:6]
	ds_store_b128 v0, v[7:10]
	v_add_f64 v[7:8], v[28:29], -v[13:14]
	v_add_f64 v[9:10], v[30:31], v[11:12]
	s_delay_alu instid0(VALU_DEP_2) | instskip(NEXT) | instid1(VALU_DEP_2)
	v_fma_f64 v[11:12], v[28:29], 2.0, -v[7:8]
	v_fma_f64 v[13:14], v[30:31], 2.0, -v[9:10]
	ds_store_b128 v0, v[11:14] offset:1600
	v_add_f64 v[11:12], v[16:17], -v[48:49]
	v_add_f64 v[13:14], v[18:19], -v[50:51]
	ds_store_b128 v0, v[3:6] offset:3200
	ds_store_b128 v0, v[7:10] offset:4800
	v_mad_u16 v0, 0x190, v69, v74
	s_delay_alu instid0(VALU_DEP_1) | instskip(NEXT) | instid1(VALU_DEP_1)
	v_and_b32_e32 v0, 0xffff, v0
	v_lshlrev_b32_e32 v0, 4, v0
	scratch_store_b32 off, v0, off offset:764 ; 4-byte Folded Spill
	v_fma_f64 v[7:8], v[16:17], 2.0, -v[11:12]
	v_fma_f64 v[9:10], v[18:19], 2.0, -v[13:14]
	v_add_f64 v[15:16], v[44:45], -v[52:53]
	v_add_f64 v[17:18], v[46:47], -v[54:55]
	s_delay_alu instid0(VALU_DEP_2) | instskip(NEXT) | instid1(VALU_DEP_2)
	v_fma_f64 v[3:4], v[44:45], 2.0, -v[15:16]
	v_fma_f64 v[5:6], v[46:47], 2.0, -v[17:18]
	s_delay_alu instid0(VALU_DEP_2) | instskip(NEXT) | instid1(VALU_DEP_2)
	v_add_f64 v[3:4], v[7:8], -v[3:4]
	v_add_f64 v[5:6], v[9:10], -v[5:6]
	s_delay_alu instid0(VALU_DEP_2) | instskip(NEXT) | instid1(VALU_DEP_2)
	v_fma_f64 v[7:8], v[7:8], 2.0, -v[3:4]
	v_fma_f64 v[9:10], v[9:10], 2.0, -v[5:6]
	ds_store_b128 v0, v[7:10]
	v_add_f64 v[7:8], v[11:12], -v[17:18]
	v_add_f64 v[9:10], v[13:14], v[15:16]
	v_add_f64 v[15:16], v[56:57], -v[64:65]
	v_add_f64 v[17:18], v[58:59], -v[66:67]
	s_delay_alu instid0(VALU_DEP_4) | instskip(NEXT) | instid1(VALU_DEP_4)
	v_fma_f64 v[11:12], v[11:12], 2.0, -v[7:8]
	v_fma_f64 v[13:14], v[13:14], 2.0, -v[9:10]
	ds_store_b128 v0, v[11:14] offset:1600
	v_add_f64 v[11:12], v[20:21], -v[60:61]
	v_add_f64 v[13:14], v[22:23], -v[62:63]
	ds_store_b128 v0, v[3:6] offset:3200
	ds_store_b128 v0, v[7:10] offset:4800
	v_fma_f64 v[3:4], v[56:57], 2.0, -v[15:16]
	v_fma_f64 v[5:6], v[58:59], 2.0, -v[17:18]
	v_mad_u16 v0, 0x190, v93, v94
	s_delay_alu instid0(VALU_DEP_1) | instskip(NEXT) | instid1(VALU_DEP_1)
	v_and_b32_e32 v0, 0xffff, v0
	v_lshlrev_b32_e32 v0, 4, v0
	v_fma_f64 v[7:8], v[20:21], 2.0, -v[11:12]
	v_fma_f64 v[9:10], v[22:23], 2.0, -v[13:14]
	s_delay_alu instid0(VALU_DEP_2) | instskip(NEXT) | instid1(VALU_DEP_2)
	v_add_f64 v[3:4], v[7:8], -v[3:4]
	v_add_f64 v[5:6], v[9:10], -v[5:6]
	s_delay_alu instid0(VALU_DEP_2) | instskip(NEXT) | instid1(VALU_DEP_2)
	v_fma_f64 v[7:8], v[7:8], 2.0, -v[3:4]
	v_fma_f64 v[9:10], v[9:10], 2.0, -v[5:6]
	ds_store_b128 v0, v[7:10]
	v_add_f64 v[7:8], v[11:12], -v[17:18]
	v_add_f64 v[9:10], v[13:14], v[15:16]
	v_add_f64 v[15:16], v[70:71], -v[80:81]
	v_add_f64 v[17:18], v[72:73], -v[82:83]
	s_delay_alu instid0(VALU_DEP_4) | instskip(NEXT) | instid1(VALU_DEP_4)
	v_fma_f64 v[11:12], v[11:12], 2.0, -v[7:8]
	v_fma_f64 v[13:14], v[13:14], 2.0, -v[9:10]
	ds_store_b128 v0, v[11:14] offset:1600
	ds_store_b128 v0, v[3:6] offset:3200
	v_add_f64 v[11:12], v[24:25], -v[76:77]
	v_add_f64 v[13:14], v[26:27], -v[78:79]
	ds_store_b128 v0, v[7:10] offset:4800
	v_fma_f64 v[3:4], v[70:71], 2.0, -v[15:16]
	v_fma_f64 v[5:6], v[72:73], 2.0, -v[17:18]
	scratch_store_b32 off, v0, off offset:768 ; 4-byte Folded Spill
	v_mad_u16 v0, 0x190, v95, v96
	s_delay_alu instid0(VALU_DEP_1) | instskip(NEXT) | instid1(VALU_DEP_1)
	v_and_b32_e32 v0, 0xffff, v0
	v_dual_mov_b32 v0, v196 :: v_dual_lshlrev_b32 v137, 4, v0
	v_fma_f64 v[7:8], v[24:25], 2.0, -v[11:12]
	v_fma_f64 v[9:10], v[26:27], 2.0, -v[13:14]
	s_delay_alu instid0(VALU_DEP_2) | instskip(NEXT) | instid1(VALU_DEP_2)
	v_add_f64 v[3:4], v[7:8], -v[3:4]
	v_add_f64 v[5:6], v[9:10], -v[5:6]
	s_delay_alu instid0(VALU_DEP_2) | instskip(NEXT) | instid1(VALU_DEP_2)
	v_fma_f64 v[7:8], v[7:8], 2.0, -v[3:4]
	v_fma_f64 v[9:10], v[9:10], 2.0, -v[5:6]
	ds_store_b128 v137, v[7:10]
	v_add_f64 v[7:8], v[11:12], -v[17:18]
	v_add_f64 v[9:10], v[13:14], v[15:16]
	s_delay_alu instid0(VALU_DEP_2) | instskip(NEXT) | instid1(VALU_DEP_2)
	v_fma_f64 v[11:12], v[11:12], 2.0, -v[7:8]
	v_fma_f64 v[13:14], v[13:14], 2.0, -v[9:10]
	ds_store_b128 v137, v[11:14] offset:1600
	ds_store_b128 v137, v[3:6] offset:3200
	;; [unrolled: 1-line block ×3, first 2 shown]
	v_mad_u64_u32 v[7:8], null, v0, 48, s[10:11]
	scratch_store_b32 off, v0, off offset:760 ; 4-byte Folded Spill
	s_waitcnt lgkmcnt(0)
	s_waitcnt_vscnt null, 0x0
	s_barrier
	buffer_gl0_inv
	v_add_nc_u32_e32 v0, 0xffffffb0, v0
	v_add_co_u32 v3, vcc_lo, 0x1000, v7
	v_add_co_ci_u32_e32 v4, vcc_lo, 0, v8, vcc_lo
	v_add_co_u32 v13, vcc_lo, 0x1860, v7
	v_add_co_ci_u32_e32 v14, vcc_lo, 0, v8, vcc_lo
	global_load_b128 v[244:247], v[3:4], off offset:2144
	ds_load_b128 v[3:6], v86 offset:12800
	s_clause 0x1
	global_load_b128 v[204:207], v[13:14], off offset:16
	global_load_b128 v[200:203], v[13:14], off offset:32
	s_waitcnt vmcnt(2) lgkmcnt(0)
	v_mul_f64 v[9:10], v[5:6], v[246:247]
	s_delay_alu instid0(VALU_DEP_1) | instskip(SKIP_1) | instid1(VALU_DEP_1)
	v_fma_f64 v[9:10], v[3:4], v[244:245], -v[9:10]
	v_mul_f64 v[3:4], v[3:4], v[246:247]
	v_fma_f64 v[11:12], v[5:6], v[244:245], v[3:4]
	ds_load_b128 v[3:6], v86 offset:25600
	s_waitcnt vmcnt(1) lgkmcnt(0)
	v_mul_f64 v[15:16], v[5:6], v[206:207]
	s_delay_alu instid0(VALU_DEP_1) | instskip(SKIP_1) | instid1(VALU_DEP_1)
	v_fma_f64 v[15:16], v[3:4], v[204:205], -v[15:16]
	v_mul_f64 v[3:4], v[3:4], v[206:207]
	v_fma_f64 v[17:18], v[5:6], v[204:205], v[3:4]
	ds_load_b128 v[3:6], v86 offset:38400
	s_waitcnt vmcnt(0) lgkmcnt(0)
	v_mul_f64 v[13:14], v[5:6], v[202:203]
	s_delay_alu instid0(VALU_DEP_1) | instskip(SKIP_1) | instid1(VALU_DEP_2)
	v_fma_f64 v[13:14], v[3:4], v[200:201], -v[13:14]
	v_mul_f64 v[3:4], v[3:4], v[202:203]
	v_add_f64 v[13:14], v[9:10], -v[13:14]
	s_delay_alu instid0(VALU_DEP_2)
	v_fma_f64 v[19:20], v[5:6], v[200:201], v[3:4]
	v_add_co_u32 v3, vcc_lo, 0x3000, v7
	v_add_co_ci_u32_e32 v4, vcc_lo, 0, v8, vcc_lo
	v_add_co_u32 v25, vcc_lo, 0x3660, v7
	v_add_co_ci_u32_e32 v26, vcc_lo, 0, v8, vcc_lo
	global_load_b128 v[196:199], v[3:4], off offset:1632
	ds_load_b128 v[3:6], v86 offset:15360
	v_cmp_gt_u16_e32 vcc_lo, 0x50, v1
	s_clause 0x1
	global_load_b128 v[188:191], v[25:26], off offset:16
	global_load_b128 v[192:195], v[25:26], off offset:32
	v_cndmask_b32_e32 v0, v0, v2, vcc_lo
	s_delay_alu instid0(VALU_DEP_1) | instskip(SKIP_3) | instid1(VALU_DEP_1)
	v_mul_i32_i24_e32 v2, 48, v0
	v_add_f64 v[19:20], v[11:12], -v[19:20]
	s_waitcnt vmcnt(2) lgkmcnt(0)
	v_mul_f64 v[21:22], v[5:6], v[198:199]
	v_fma_f64 v[21:22], v[3:4], v[196:197], -v[21:22]
	v_mul_f64 v[3:4], v[3:4], v[198:199]
	s_delay_alu instid0(VALU_DEP_1) | instskip(SKIP_3) | instid1(VALU_DEP_1)
	v_fma_f64 v[23:24], v[5:6], v[196:197], v[3:4]
	ds_load_b128 v[3:6], v86 offset:28160
	s_waitcnt vmcnt(1) lgkmcnt(0)
	v_mul_f64 v[27:28], v[5:6], v[190:191]
	v_fma_f64 v[27:28], v[3:4], v[188:189], -v[27:28]
	v_mul_f64 v[3:4], v[3:4], v[190:191]
	s_delay_alu instid0(VALU_DEP_1) | instskip(SKIP_3) | instid1(VALU_DEP_1)
	v_fma_f64 v[29:30], v[5:6], v[188:189], v[3:4]
	ds_load_b128 v[3:6], v86 offset:40960
	s_waitcnt vmcnt(0) lgkmcnt(0)
	v_mul_f64 v[25:26], v[5:6], v[194:195]
	v_fma_f64 v[25:26], v[3:4], v[192:193], -v[25:26]
	v_mul_f64 v[3:4], v[3:4], v[194:195]
	s_delay_alu instid0(VALU_DEP_2) | instskip(NEXT) | instid1(VALU_DEP_2)
	v_add_f64 v[25:26], v[21:22], -v[25:26]
	v_fma_f64 v[31:32], v[5:6], v[192:193], v[3:4]
	v_add_co_u32 v6, vcc_lo, s10, v2
	v_mul_hi_i32_i24_e32 v2, 48, v0
	s_delay_alu instid0(VALU_DEP_1) | instskip(NEXT) | instid1(VALU_DEP_3)
	v_add_co_ci_u32_e32 v38, vcc_lo, s11, v2, vcc_lo
	v_add_co_u32 v2, vcc_lo, 0x1000, v6
	s_delay_alu instid0(VALU_DEP_2)
	v_add_co_ci_u32_e32 v3, vcc_lo, 0, v38, vcc_lo
	v_add_co_u32 v37, vcc_lo, 0x1860, v6
	v_add_co_ci_u32_e32 v38, vcc_lo, 0, v38, vcc_lo
	global_load_b128 v[184:187], v[2:3], off offset:2144
	ds_load_b128 v[2:5], v86 offset:17920
	s_clause 0x1
	global_load_b128 v[180:183], v[37:38], off offset:16
	global_load_b128 v[176:179], v[37:38], off offset:32
	v_add_f64 v[31:32], v[23:24], -v[31:32]
	s_waitcnt vmcnt(2) lgkmcnt(0)
	v_mul_f64 v[33:34], v[4:5], v[186:187]
	s_delay_alu instid0(VALU_DEP_1) | instskip(SKIP_1) | instid1(VALU_DEP_1)
	v_fma_f64 v[33:34], v[2:3], v[184:185], -v[33:34]
	v_mul_f64 v[2:3], v[2:3], v[186:187]
	v_fma_f64 v[35:36], v[4:5], v[184:185], v[2:3]
	ds_load_b128 v[2:5], v86 offset:30720
	s_waitcnt vmcnt(1) lgkmcnt(0)
	v_mul_f64 v[39:40], v[4:5], v[182:183]
	s_delay_alu instid0(VALU_DEP_1) | instskip(SKIP_1) | instid1(VALU_DEP_1)
	v_fma_f64 v[39:40], v[2:3], v[180:181], -v[39:40]
	v_mul_f64 v[2:3], v[2:3], v[182:183]
	v_fma_f64 v[41:42], v[4:5], v[180:181], v[2:3]
	ds_load_b128 v[2:5], v86 offset:43520
	s_waitcnt vmcnt(0) lgkmcnt(0)
	v_mul_f64 v[37:38], v[4:5], v[178:179]
	s_delay_alu instid0(VALU_DEP_1) | instskip(SKIP_1) | instid1(VALU_DEP_1)
	v_fma_f64 v[37:38], v[2:3], v[176:177], -v[37:38]
	v_mul_f64 v[2:3], v[2:3], v[178:179]
	v_fma_f64 v[43:44], v[4:5], v[176:177], v[2:3]
	v_add_co_u32 v2, vcc_lo, 0x2000, v7
	v_add_co_ci_u32_e32 v3, vcc_lo, 0, v8, vcc_lo
	v_add_co_u32 v49, vcc_lo, 0x2760, v7
	v_add_co_ci_u32_e32 v50, vcc_lo, 0, v8, vcc_lo
	global_load_b128 v[172:175], v[2:3], off offset:1888
	ds_load_b128 v[2:5], v86 offset:20480
	s_clause 0x1
	global_load_b128 v[168:171], v[49:50], off offset:16
	global_load_b128 v[148:151], v[49:50], off offset:32
	s_waitcnt vmcnt(2) lgkmcnt(0)
	v_mul_f64 v[45:46], v[4:5], v[174:175]
	s_delay_alu instid0(VALU_DEP_1) | instskip(SKIP_1) | instid1(VALU_DEP_1)
	v_fma_f64 v[45:46], v[2:3], v[172:173], -v[45:46]
	v_mul_f64 v[2:3], v[2:3], v[174:175]
	v_fma_f64 v[47:48], v[4:5], v[172:173], v[2:3]
	ds_load_b128 v[2:5], v86 offset:33280
	s_waitcnt vmcnt(1) lgkmcnt(0)
	v_mul_f64 v[51:52], v[4:5], v[170:171]
	s_delay_alu instid0(VALU_DEP_1) | instskip(SKIP_1) | instid1(VALU_DEP_1)
	v_fma_f64 v[51:52], v[2:3], v[168:169], -v[51:52]
	v_mul_f64 v[2:3], v[2:3], v[170:171]
	v_fma_f64 v[53:54], v[4:5], v[168:169], v[2:3]
	ds_load_b128 v[2:5], v86 offset:46080
	s_waitcnt vmcnt(0) lgkmcnt(0)
	v_mul_f64 v[49:50], v[4:5], v[150:151]
	s_delay_alu instid0(VALU_DEP_1) | instskip(SKIP_1) | instid1(VALU_DEP_1)
	v_fma_f64 v[49:50], v[2:3], v[148:149], -v[49:50]
	v_mul_f64 v[2:3], v[2:3], v[150:151]
	v_fma_f64 v[55:56], v[4:5], v[148:149], v[2:3]
	v_add_co_u32 v2, vcc_lo, 0x4000, v7
	v_add_co_ci_u32_e32 v3, vcc_lo, 0, v8, vcc_lo
	v_add_co_u32 v6, vcc_lo, 0x4560, v7
	v_add_co_ci_u32_e32 v7, vcc_lo, 0, v8, vcc_lo
	global_load_b128 v[144:147], v[2:3], off offset:1376
	ds_load_b128 v[2:5], v86 offset:23040
	v_cmp_lt_u16_e32 vcc_lo, 0x4f, v1
	s_clause 0x1
	global_load_b128 v[140:143], v[6:7], off offset:16
	global_load_b128 v[120:123], v[6:7], off offset:32
	v_cndmask_b32_e64 v1, 0, 0x640, vcc_lo
	s_delay_alu instid0(VALU_DEP_1) | instskip(SKIP_2) | instid1(VALU_DEP_1)
	v_add_lshl_u32 v125, v0, v1, 4
	s_waitcnt vmcnt(2) lgkmcnt(0)
	v_mul_f64 v[57:58], v[4:5], v[146:147]
	v_fma_f64 v[57:58], v[2:3], v[144:145], -v[57:58]
	v_mul_f64 v[2:3], v[2:3], v[146:147]
	s_delay_alu instid0(VALU_DEP_1) | instskip(SKIP_3) | instid1(VALU_DEP_1)
	v_fma_f64 v[59:60], v[4:5], v[144:145], v[2:3]
	ds_load_b128 v[2:5], v86 offset:35840
	s_waitcnt vmcnt(1) lgkmcnt(0)
	v_mul_f64 v[61:62], v[4:5], v[142:143]
	v_fma_f64 v[61:62], v[2:3], v[140:141], -v[61:62]
	v_mul_f64 v[2:3], v[2:3], v[142:143]
	s_delay_alu instid0(VALU_DEP_1) | instskip(SKIP_3) | instid1(VALU_DEP_1)
	v_fma_f64 v[63:64], v[4:5], v[140:141], v[2:3]
	ds_load_b128 v[2:5], v86 offset:48640
	s_waitcnt vmcnt(0) lgkmcnt(0)
	v_mul_f64 v[6:7], v[4:5], v[122:123]
	v_fma_f64 v[65:66], v[2:3], v[120:121], -v[6:7]
	v_mul_f64 v[2:3], v[2:3], v[122:123]
	s_delay_alu instid0(VALU_DEP_1)
	v_fma_f64 v[71:72], v[4:5], v[120:121], v[2:3]
	ds_load_b128 v[2:5], v86
	ds_load_b128 v[152:155], v86 offset:2560
	ds_load_b128 v[156:159], v86 offset:5120
	;; [unrolled: 1-line block ×4, first 2 shown]
	s_waitcnt lgkmcnt(0)
	s_barrier
	buffer_gl0_inv
	v_add_f64 v[6:7], v[2:3], -v[15:16]
	v_add_f64 v[15:16], v[4:5], -v[17:18]
	s_delay_alu instid0(VALU_DEP_2) | instskip(NEXT) | instid1(VALU_DEP_2)
	v_fma_f64 v[17:18], v[2:3], 2.0, -v[6:7]
	v_fma_f64 v[73:74], v[4:5], 2.0, -v[15:16]
	v_add_f64 v[2:3], v[6:7], -v[19:20]
	v_add_f64 v[4:5], v[15:16], v[13:14]
	s_delay_alu instid0(VALU_DEP_2) | instskip(NEXT) | instid1(VALU_DEP_2)
	v_fma_f64 v[76:77], v[6:7], 2.0, -v[2:3]
	v_fma_f64 v[78:79], v[15:16], 2.0, -v[4:5]
	v_add_f64 v[6:7], v[152:153], -v[27:28]
	v_add_f64 v[15:16], v[154:155], -v[29:30]
	ds_store_b128 v86, v[2:5] offset:19200
	v_add_f64 v[2:3], v[6:7], -v[31:32]
	v_add_f64 v[4:5], v[15:16], v[25:26]
	v_fma_f64 v[27:28], v[152:153], 2.0, -v[6:7]
	v_fma_f64 v[29:30], v[154:155], 2.0, -v[15:16]
	s_delay_alu instid0(VALU_DEP_4) | instskip(NEXT) | instid1(VALU_DEP_4)
	v_fma_f64 v[152:153], v[6:7], 2.0, -v[2:3]
	v_fma_f64 v[154:155], v[15:16], 2.0, -v[4:5]
	ds_store_b128 v86, v[2:5] offset:21760
	ds_store_b128 v86, v[76:79] offset:6400
	;; [unrolled: 1-line block ×3, first 2 shown]
	v_fma_f64 v[2:3], v[9:10], 2.0, -v[13:14]
	v_fma_f64 v[4:5], v[11:12], 2.0, -v[19:20]
	v_add_f64 v[6:7], v[156:157], -v[39:40]
	v_add_f64 v[8:9], v[158:159], -v[41:42]
	;; [unrolled: 1-line block ×6, first 2 shown]
	v_fma_f64 v[10:11], v[156:157], 2.0, -v[6:7]
	v_fma_f64 v[12:13], v[158:159], 2.0, -v[8:9]
	s_delay_alu instid0(VALU_DEP_4) | instskip(NEXT) | instid1(VALU_DEP_4)
	v_fma_f64 v[76:77], v[17:18], 2.0, -v[2:3]
	v_fma_f64 v[78:79], v[73:74], 2.0, -v[4:5]
	ds_store_b128 v86, v[2:5] offset:12800
	v_fma_f64 v[2:3], v[21:22], 2.0, -v[25:26]
	v_fma_f64 v[4:5], v[23:24], 2.0, -v[31:32]
	v_add_f64 v[16:17], v[35:36], -v[43:44]
	v_add_f64 v[25:26], v[57:58], -v[65:66]
	v_fma_f64 v[23:24], v[166:167], 2.0, -v[19:20]
	v_add_f64 v[2:3], v[27:28], -v[2:3]
	v_add_f64 v[4:5], v[29:30], -v[4:5]
	s_delay_alu instid0(VALU_DEP_2) | instskip(NEXT) | instid1(VALU_DEP_2)
	v_fma_f64 v[152:153], v[27:28], 2.0, -v[2:3]
	v_fma_f64 v[154:155], v[29:30], 2.0, -v[4:5]
	ds_store_b128 v86, v[2:5] offset:15360
	ds_store_b128 v86, v[76:79]
	ds_store_b128 v86, v[152:155] offset:2560
	v_fma_f64 v[2:3], v[33:34], 2.0, -v[14:15]
	v_fma_f64 v[4:5], v[35:36], 2.0, -v[16:17]
	v_add_f64 v[27:28], v[59:60], -v[71:72]
	s_delay_alu instid0(VALU_DEP_3) | instskip(NEXT) | instid1(VALU_DEP_3)
	v_add_f64 v[2:3], v[10:11], -v[2:3]
	v_add_f64 v[4:5], v[12:13], -v[4:5]
	s_delay_alu instid0(VALU_DEP_2) | instskip(NEXT) | instid1(VALU_DEP_2)
	v_fma_f64 v[152:153], v[10:11], 2.0, -v[2:3]
	v_fma_f64 v[154:155], v[12:13], 2.0, -v[4:5]
	v_add_f64 v[11:12], v[162:163], -v[53:54]
	ds_store_b128 v125, v[152:155]
	v_add_f64 v[152:153], v[6:7], -v[16:17]
	v_add_f64 v[154:155], v[8:9], v[14:15]
	v_add_f64 v[13:14], v[45:46], -v[49:50]
	v_add_f64 v[15:16], v[47:48], -v[55:56]
	;; [unrolled: 1-line block ×3, first 2 shown]
	v_fma_f64 v[156:157], v[6:7], 2.0, -v[152:153]
	v_fma_f64 v[158:159], v[8:9], 2.0, -v[154:155]
	v_add_f64 v[9:10], v[160:161], -v[51:52]
	ds_store_b128 v125, v[156:159] offset:6400
	ds_store_b128 v125, v[2:5] offset:12800
	;; [unrolled: 1-line block ×3, first 2 shown]
	v_fma_f64 v[5:6], v[160:161], 2.0, -v[9:10]
	v_fma_f64 v[7:8], v[162:163], 2.0, -v[11:12]
	;; [unrolled: 1-line block ×5, first 2 shown]
	s_delay_alu instid0(VALU_DEP_3) | instskip(NEXT) | instid1(VALU_DEP_3)
	v_add_f64 v[1:2], v[5:6], -v[0:1]
	v_add_f64 v[3:4], v[7:8], -v[3:4]
	s_delay_alu instid0(VALU_DEP_2) | instskip(NEXT) | instid1(VALU_DEP_2)
	v_fma_f64 v[5:6], v[5:6], 2.0, -v[1:2]
	v_fma_f64 v[7:8], v[7:8], 2.0, -v[3:4]
	ds_store_b128 v86, v[5:8] offset:26880
	v_fma_f64 v[5:6], v[57:58], 2.0, -v[25:26]
	v_fma_f64 v[7:8], v[59:60], 2.0, -v[27:28]
	s_delay_alu instid0(VALU_DEP_2) | instskip(NEXT) | instid1(VALU_DEP_2)
	v_add_f64 v[5:6], v[21:22], -v[5:6]
	v_add_f64 v[7:8], v[23:24], -v[7:8]
	s_delay_alu instid0(VALU_DEP_2) | instskip(NEXT) | instid1(VALU_DEP_2)
	v_fma_f64 v[152:153], v[21:22], 2.0, -v[5:6]
	v_fma_f64 v[154:155], v[23:24], 2.0, -v[7:8]
	ds_store_b128 v86, v[152:155] offset:29440
	v_add_f64 v[152:153], v[9:10], -v[15:16]
	v_add_f64 v[154:155], v[11:12], v[13:14]
	s_delay_alu instid0(VALU_DEP_2) | instskip(NEXT) | instid1(VALU_DEP_2)
	v_fma_f64 v[156:157], v[9:10], 2.0, -v[152:153]
	v_fma_f64 v[158:159], v[11:12], 2.0, -v[154:155]
	ds_store_b128 v86, v[156:159] offset:33280
	v_add_f64 v[156:157], v[17:18], -v[27:28]
	v_add_f64 v[158:159], v[19:20], v[25:26]
	v_add_co_u32 v25, s10, s10, v86
	s_delay_alu instid0(VALU_DEP_1) | instskip(SKIP_1) | instid1(VALU_DEP_1)
	v_add_co_ci_u32_e64 v26, null, s11, 0, s10
	v_add_co_u32 v68, s10, s24, v86
	v_add_co_ci_u32_e64 v69, null, s25, 0, s10
	v_fma_f64 v[160:161], v[17:18], 2.0, -v[156:157]
	v_fma_f64 v[162:163], v[19:20], 2.0, -v[158:159]
	ds_store_b128 v86, v[160:163] offset:35840
	ds_store_b128 v86, v[1:4] offset:39680
	;; [unrolled: 1-line block ×5, first 2 shown]
	v_add_co_u32 v5, vcc_lo, 0x6000, v25
	v_add_co_ci_u32_e32 v6, vcc_lo, 0, v26, vcc_lo
	s_waitcnt lgkmcnt(0)
	s_barrier
	buffer_gl0_inv
	global_load_b128 v[9:12], v[5:6], off offset:864
	ds_load_b128 v[1:4], v86 offset:25600
	ds_load_b128 v[76:79], v86 offset:5120
	s_waitcnt vmcnt(0) lgkmcnt(1)
	v_mul_f64 v[7:8], v[3:4], v[11:12]
	scratch_store_b128 off, v[9:12], off offset:680 ; 16-byte Folded Spill
	v_fma_f64 v[80:81], v[1:2], v[9:10], -v[7:8]
	v_mul_f64 v[0:1], v[1:2], v[11:12]
	s_delay_alu instid0(VALU_DEP_1)
	v_fma_f64 v[82:83], v[3:4], v[9:10], v[0:1]
	global_load_b128 v[7:10], v[5:6], off offset:3424
	ds_load_b128 v[1:4], v86 offset:28160
	s_waitcnt vmcnt(0) lgkmcnt(0)
	v_mul_f64 v[5:6], v[3:4], v[9:10]
	scratch_store_b128 off, v[7:10], off offset:600 ; 16-byte Folded Spill
	v_fma_f64 v[5:6], v[1:2], v[7:8], -v[5:6]
	v_mul_f64 v[0:1], v[1:2], v[9:10]
	s_delay_alu instid0(VALU_DEP_1)
	v_fma_f64 v[7:8], v[3:4], v[7:8], v[0:1]
	v_add_co_u32 v0, vcc_lo, 0x7000, v25
	v_add_co_ci_u32_e32 v1, vcc_lo, 0, v26, vcc_lo
	global_load_b128 v[11:14], v[0:1], off offset:1888
	ds_load_b128 v[1:4], v86 offset:30720
	s_waitcnt vmcnt(0) lgkmcnt(0)
	v_mul_f64 v[9:10], v[3:4], v[13:14]
	scratch_store_b128 off, v[11:14], off offset:616 ; 16-byte Folded Spill
	v_fma_f64 v[9:10], v[1:2], v[11:12], -v[9:10]
	v_mul_f64 v[0:1], v[1:2], v[13:14]
	v_add_co_u32 v13, vcc_lo, 0x8000, v25
	v_add_co_ci_u32_e32 v14, vcc_lo, 0, v26, vcc_lo
	global_load_b128 v[17:20], v[13:14], off offset:352
	v_fma_f64 v[11:12], v[3:4], v[11:12], v[0:1]
	ds_load_b128 v[1:4], v86 offset:33280
	s_waitcnt vmcnt(0) lgkmcnt(0)
	v_mul_f64 v[15:16], v[3:4], v[19:20]
	scratch_store_b128 off, v[17:20], off offset:632 ; 16-byte Folded Spill
	v_fma_f64 v[15:16], v[1:2], v[17:18], -v[15:16]
	v_mul_f64 v[0:1], v[1:2], v[19:20]
	global_load_b128 v[19:22], v[13:14], off offset:2912
	v_fma_f64 v[17:18], v[3:4], v[17:18], v[0:1]
	ds_load_b128 v[1:4], v86 offset:35840
	s_waitcnt vmcnt(0) lgkmcnt(0)
	v_mul_f64 v[13:14], v[3:4], v[21:22]
	scratch_store_b128 off, v[19:22], off offset:648 ; 16-byte Folded Spill
	v_fma_f64 v[13:14], v[1:2], v[19:20], -v[13:14]
	v_mul_f64 v[0:1], v[1:2], v[21:22]
	v_add_co_u32 v21, vcc_lo, 0x9000, v25
	v_add_co_ci_u32_e32 v22, vcc_lo, 0, v26, vcc_lo
	s_clause 0x1
	global_load_b128 v[27:30], v[21:22], off offset:1376
	global_load_b128 v[164:167], v[21:22], off offset:3936
	v_fma_f64 v[19:20], v[3:4], v[19:20], v[0:1]
	ds_load_b128 v[1:4], v86 offset:38400
	s_waitcnt vmcnt(1) lgkmcnt(0)
	v_mul_f64 v[23:24], v[3:4], v[29:30]
	s_delay_alu instid0(VALU_DEP_1) | instskip(SKIP_1) | instid1(VALU_DEP_1)
	v_fma_f64 v[40:41], v[1:2], v[27:28], -v[23:24]
	v_mul_f64 v[0:1], v[1:2], v[29:30]
	v_fma_f64 v[42:43], v[3:4], v[27:28], v[0:1]
	ds_load_b128 v[1:4], v86 offset:40960
	s_waitcnt vmcnt(0) lgkmcnt(0)
	v_mul_f64 v[21:22], v[3:4], v[166:167]
	s_delay_alu instid0(VALU_DEP_1) | instskip(SKIP_1) | instid1(VALU_DEP_1)
	v_fma_f64 v[44:45], v[1:2], v[164:165], -v[21:22]
	v_mul_f64 v[0:1], v[1:2], v[166:167]
	v_fma_f64 v[46:47], v[3:4], v[164:165], v[0:1]
	v_add_co_u32 v0, vcc_lo, 0xa000, v25
	v_add_co_ci_u32_e32 v1, vcc_lo, 0, v26, vcc_lo
	global_load_b128 v[160:163], v[0:1], off offset:2400
	ds_load_b128 v[1:4], v86 offset:43520
	s_waitcnt vmcnt(0) lgkmcnt(0)
	v_mul_f64 v[21:22], v[3:4], v[162:163]
	s_delay_alu instid0(VALU_DEP_1)
	v_fma_f64 v[48:49], v[1:2], v[160:161], -v[21:22]
	v_add_co_u32 v21, vcc_lo, 0xb000, v25
	v_add_co_ci_u32_e32 v22, vcc_lo, 0, v26, vcc_lo
	v_mul_f64 v[0:1], v[1:2], v[162:163]
	s_clause 0x1
	global_load_b128 v[152:155], v[21:22], off offset:3424
	global_load_b128 v[156:159], v[21:22], off offset:864
	scratch_store_b128 off, v[27:30], off offset:664 ; 16-byte Folded Spill
	v_add_f64 v[30:31], v[78:79], -v[11:12]
	v_add_f64 v[28:29], v[76:77], -v[9:10]
	v_fma_f64 v[50:51], v[3:4], v[160:161], v[0:1]
	ds_load_b128 v[1:4], v86 offset:46080
	v_fma_f64 v[78:79], v[78:79], 2.0, -v[30:31]
	v_fma_f64 v[76:77], v[76:77], 2.0, -v[28:29]
	s_waitcnt vmcnt(0) lgkmcnt(0)
	v_mul_f64 v[23:24], v[3:4], v[158:159]
	s_delay_alu instid0(VALU_DEP_1) | instskip(SKIP_1) | instid1(VALU_DEP_1)
	v_fma_f64 v[84:85], v[1:2], v[156:157], -v[23:24]
	v_mul_f64 v[0:1], v[1:2], v[158:159]
	v_fma_f64 v[87:88], v[3:4], v[156:157], v[0:1]
	ds_load_b128 v[1:4], v86 offset:48640
	s_waitcnt lgkmcnt(0)
	v_mul_f64 v[21:22], v[3:4], v[154:155]
	s_delay_alu instid0(VALU_DEP_1) | instskip(SKIP_1) | instid1(VALU_DEP_1)
	v_fma_f64 v[89:90], v[1:2], v[152:153], -v[21:22]
	v_mul_f64 v[0:1], v[1:2], v[154:155]
	v_fma_f64 v[91:92], v[3:4], v[152:153], v[0:1]
	ds_load_b128 v[1:4], v86 offset:2560
	s_waitcnt lgkmcnt(0)
	v_add_f64 v[36:37], v[1:2], -v[5:6]
	v_add_f64 v[38:39], v[3:4], -v[7:8]
	s_delay_alu instid0(VALU_DEP_2) | instskip(NEXT) | instid1(VALU_DEP_2)
	v_fma_f64 v[71:72], v[1:2], 2.0, -v[36:37]
	v_fma_f64 v[73:74], v[3:4], 2.0, -v[38:39]
	ds_load_b128 v[0:3], v86 offset:7680
	s_waitcnt lgkmcnt(0)
	v_add_f64 v[32:33], v[0:1], -v[15:16]
	v_add_f64 v[34:35], v[2:3], -v[17:18]
	s_delay_alu instid0(VALU_DEP_2) | instskip(NEXT) | instid1(VALU_DEP_2)
	v_fma_f64 v[64:65], v[0:1], 2.0, -v[32:33]
	v_fma_f64 v[66:67], v[2:3], 2.0, -v[34:35]
	;; [unrolled: 7-line block ×8, first 2 shown]
	ds_load_b128 v[0:3], v86
	s_waitcnt lgkmcnt(0)
	v_add_f64 v[4:5], v[0:1], -v[80:81]
	v_add_f64 v[6:7], v[2:3], -v[82:83]
	s_delay_alu instid0(VALU_DEP_2) | instskip(NEXT) | instid1(VALU_DEP_2)
	v_fma_f64 v[0:1], v[0:1], 2.0, -v[4:5]
	v_fma_f64 v[2:3], v[2:3], 2.0, -v[6:7]
	ds_store_b128 v86, v[36:39] offset:28160
	ds_store_b128 v86, v[28:31] offset:30720
	;; [unrolled: 1-line block ×19, first 2 shown]
	ds_store_b128 v86, v[0:3]
	s_waitcnt lgkmcnt(0)
	s_waitcnt_vscnt null, 0x0
	s_barrier
	buffer_gl0_inv
	global_load_b128 v[5:8], v86, s[24:25]
	ds_load_b128 v[38:41], v86 offset:30720
	ds_load_b128 v[1:4], v86
	ds_load_b128 v[56:59], v86 offset:46080
	v_add_co_u32 v0, vcc_lo, 0x1000, v68
	ds_load_b128 v[14:17], v86 offset:10240
	ds_load_b128 v[76:79], v86 offset:12800
	;; [unrolled: 1-line block ×10, first 2 shown]
	s_waitcnt vmcnt(0) lgkmcnt(11)
	v_mul_f64 v[9:10], v[3:4], v[7:8]
	v_mul_f64 v[7:8], v[1:2], v[7:8]
	s_delay_alu instid0(VALU_DEP_2) | instskip(SKIP_1) | instid1(VALU_DEP_3)
	v_fma_f64 v[95:96], v[1:2], v[5:6], -v[9:10]
	v_add_co_ci_u32_e32 v1, vcc_lo, 0, v69, vcc_lo
	v_fma_f64 v[97:98], v[3:4], v[5:6], v[7:8]
	ds_load_b128 v[8:11], v86 offset:5120
	global_load_b128 v[4:7], v[0:1], off offset:1024
	s_waitcnt vmcnt(0) lgkmcnt(0)
	v_mul_f64 v[2:3], v[10:11], v[6:7]
	v_mul_f64 v[6:7], v[8:9], v[6:7]
	s_delay_alu instid0(VALU_DEP_2) | instskip(SKIP_2) | instid1(VALU_DEP_4)
	v_fma_f64 v[91:92], v[8:9], v[4:5], -v[2:3]
	v_add_co_u32 v2, vcc_lo, 0x2000, v68
	v_add_co_ci_u32_e32 v3, vcc_lo, 0, v69, vcc_lo
	v_fma_f64 v[93:94], v[10:11], v[4:5], v[6:7]
	global_load_b128 v[10:13], v[2:3], off offset:2048
	s_waitcnt vmcnt(0)
	v_mul_f64 v[2:3], v[16:17], v[12:13]
	v_mul_f64 v[4:5], v[14:15], v[12:13]
	s_delay_alu instid0(VALU_DEP_2) | instskip(SKIP_2) | instid1(VALU_DEP_4)
	v_fma_f64 v[87:88], v[14:15], v[10:11], -v[2:3]
	v_add_co_u32 v2, vcc_lo, 0x3000, v68
	v_add_co_ci_u32_e32 v3, vcc_lo, 0, v69, vcc_lo
	v_fma_f64 v[89:90], v[16:17], v[10:11], v[4:5]
	global_load_b128 v[16:19], v[2:3], off offset:3072
	s_waitcnt vmcnt(0)
	v_mul_f64 v[4:5], v[22:23], v[18:19]
	v_mul_f64 v[6:7], v[20:21], v[18:19]
	s_delay_alu instid0(VALU_DEP_2)
	v_fma_f64 v[80:81], v[20:21], v[16:17], -v[4:5]
	scratch_load_b32 v4, off, off offset:340 ; 4-byte Folded Reload
	v_fma_f64 v[82:83], v[22:23], v[16:17], v[6:7]
	s_waitcnt vmcnt(0)
	global_load_b128 v[22:25], v4, s[24:25]
	s_waitcnt vmcnt(0)
	v_mul_f64 v[4:5], v[28:29], v[24:25]
	v_mul_f64 v[6:7], v[26:27], v[24:25]
	s_delay_alu instid0(VALU_DEP_2) | instskip(SKIP_2) | instid1(VALU_DEP_4)
	v_fma_f64 v[24:25], v[26:27], v[22:23], -v[4:5]
	v_add_co_u32 v4, vcc_lo, 0x6000, v68
	v_add_co_ci_u32_e32 v5, vcc_lo, 0, v69, vcc_lo
	v_fma_f64 v[26:27], v[28:29], v[22:23], v[6:7]
	global_load_b128 v[28:31], v[4:5], off offset:1024
	s_waitcnt vmcnt(0)
	v_mul_f64 v[6:7], v[34:35], v[30:31]
	v_mul_f64 v[8:9], v[32:33], v[30:31]
	s_delay_alu instid0(VALU_DEP_2) | instskip(SKIP_2) | instid1(VALU_DEP_4)
	v_fma_f64 v[30:31], v[32:33], v[28:29], -v[6:7]
	v_add_co_u32 v6, vcc_lo, 0x7000, v68
	v_add_co_ci_u32_e32 v7, vcc_lo, 0, v69, vcc_lo
	v_fma_f64 v[32:33], v[34:35], v[28:29], v[8:9]
	global_load_b128 v[34:37], v[6:7], off offset:2048
	s_waitcnt vmcnt(0)
	v_mul_f64 v[6:7], v[40:41], v[36:37]
	v_mul_f64 v[8:9], v[38:39], v[36:37]
	s_delay_alu instid0(VALU_DEP_2) | instskip(SKIP_2) | instid1(VALU_DEP_4)
	v_fma_f64 v[36:37], v[38:39], v[34:35], -v[6:7]
	v_add_co_u32 v6, vcc_lo, 0x8000, v68
	v_add_co_ci_u32_e32 v7, vcc_lo, 0, v69, vcc_lo
	v_fma_f64 v[38:39], v[40:41], v[34:35], v[8:9]
	v_add_co_u32 v20, vcc_lo, 0xb000, v68
	global_load_b128 v[40:43], v[6:7], off offset:3072
	v_add_co_ci_u32_e32 v21, vcc_lo, 0, v69, vcc_lo
	s_waitcnt vmcnt(0)
	v_mul_f64 v[8:9], v[46:47], v[42:43]
	v_mul_f64 v[10:11], v[44:45], v[42:43]
	s_delay_alu instid0(VALU_DEP_2)
	v_fma_f64 v[42:43], v[44:45], v[40:41], -v[8:9]
	scratch_load_b32 v8, off, off offset:336 ; 4-byte Folded Reload
	v_fma_f64 v[44:45], v[46:47], v[40:41], v[10:11]
	s_waitcnt vmcnt(0)
	global_load_b128 v[46:49], v8, s[24:25]
	s_waitcnt vmcnt(0)
	v_mul_f64 v[8:9], v[52:53], v[48:49]
	v_mul_f64 v[10:11], v[50:51], v[48:49]
	s_delay_alu instid0(VALU_DEP_2) | instskip(NEXT) | instid1(VALU_DEP_2)
	v_fma_f64 v[48:49], v[50:51], v[46:47], -v[8:9]
	v_fma_f64 v[50:51], v[52:53], v[46:47], v[10:11]
	global_load_b128 v[52:55], v[20:21], off offset:1024
	s_waitcnt vmcnt(0)
	v_mul_f64 v[8:9], v[58:59], v[54:55]
	v_mul_f64 v[10:11], v[56:57], v[54:55]
	s_delay_alu instid0(VALU_DEP_2) | instskip(NEXT) | instid1(VALU_DEP_2)
	v_fma_f64 v[54:55], v[56:57], v[52:53], -v[8:9]
	v_fma_f64 v[56:57], v[58:59], v[52:53], v[10:11]
	global_load_b128 v[58:61], v86, s[24:25] offset:2560
	s_waitcnt vmcnt(0)
	v_mul_f64 v[8:9], v[64:65], v[60:61]
	v_mul_f64 v[10:11], v[62:63], v[60:61]
	s_delay_alu instid0(VALU_DEP_2) | instskip(NEXT) | instid1(VALU_DEP_2)
	v_fma_f64 v[60:61], v[62:63], v[58:59], -v[8:9]
	v_fma_f64 v[62:63], v[64:65], v[58:59], v[10:11]
	global_load_b128 v[64:67], v[0:1], off offset:3584
	s_waitcnt vmcnt(0)
	v_mul_f64 v[0:1], v[73:74], v[66:67]
	v_mul_f64 v[8:9], v[71:72], v[66:67]
	s_delay_alu instid0(VALU_DEP_2) | instskip(NEXT) | instid1(VALU_DEP_2)
	v_fma_f64 v[71:72], v[71:72], v[64:65], -v[0:1]
	v_fma_f64 v[73:74], v[73:74], v[64:65], v[8:9]
	global_load_b128 v[64:67], v[2:3], off offset:512
	s_waitcnt vmcnt(0)
	v_mul_f64 v[0:1], v[78:79], v[66:67]
	v_mul_f64 v[2:3], v[76:77], v[66:67]
	s_delay_alu instid0(VALU_DEP_2) | instskip(SKIP_2) | instid1(VALU_DEP_4)
	v_fma_f64 v[76:77], v[76:77], v[64:65], -v[0:1]
	v_add_co_u32 v0, vcc_lo, 0x4000, v68
	v_add_co_ci_u32_e32 v1, vcc_lo, 0, v69, vcc_lo
	v_fma_f64 v[78:79], v[78:79], v[64:65], v[2:3]
	global_load_b128 v[64:67], v[0:1], off offset:1536
	s_waitcnt vmcnt(0)
	v_mul_f64 v[0:1], v[102:103], v[66:67]
	v_mul_f64 v[2:3], v[100:101], v[66:67]
	s_delay_alu instid0(VALU_DEP_2) | instskip(SKIP_2) | instid1(VALU_DEP_4)
	v_fma_f64 v[100:101], v[100:101], v[64:65], -v[0:1]
	v_add_co_u32 v0, vcc_lo, 0x5000, v68
	v_add_co_ci_u32_e32 v1, vcc_lo, 0, v69, vcc_lo
	v_fma_f64 v[102:103], v[102:103], v[64:65], v[2:3]
	global_load_b128 v[64:67], v[0:1], off offset:2560
	ds_load_b128 v[0:3], v86 offset:23040
	s_waitcnt vmcnt(0) lgkmcnt(0)
	v_mul_f64 v[8:9], v[2:3], v[66:67]
	v_mul_f64 v[10:11], v[0:1], v[66:67]
	s_delay_alu instid0(VALU_DEP_2) | instskip(NEXT) | instid1(VALU_DEP_2)
	v_fma_f64 v[16:17], v[0:1], v[64:65], -v[8:9]
	v_fma_f64 v[18:19], v[2:3], v[64:65], v[10:11]
	global_load_b128 v[64:67], v[4:5], off offset:3584
	ds_load_b128 v[0:3], v86 offset:28160
	s_waitcnt vmcnt(0) lgkmcnt(0)
	v_mul_f64 v[8:9], v[0:1], v[66:67]
	v_mul_f64 v[4:5], v[2:3], v[66:67]
	s_delay_alu instid0(VALU_DEP_2)
	v_fma_f64 v[14:15], v[2:3], v[64:65], v[8:9]
	global_load_b128 v[8:11], v[6:7], off offset:512
	v_fma_f64 v[12:13], v[0:1], v[64:65], -v[4:5]
	ds_load_b128 v[64:67], v86 offset:33280
	s_waitcnt vmcnt(0) lgkmcnt(0)
	v_mul_f64 v[0:1], v[66:67], v[10:11]
	v_mul_f64 v[2:3], v[64:65], v[10:11]
	s_delay_alu instid0(VALU_DEP_2) | instskip(SKIP_2) | instid1(VALU_DEP_4)
	v_fma_f64 v[64:65], v[64:65], v[8:9], -v[0:1]
	v_add_co_u32 v0, vcc_lo, 0x9000, v68
	v_add_co_ci_u32_e32 v1, vcc_lo, 0, v69, vcc_lo
	v_fma_f64 v[66:67], v[66:67], v[8:9], v[2:3]
	global_load_b128 v[8:11], v[0:1], off offset:1536
	ds_load_b128 v[0:3], v86 offset:38400
	s_waitcnt vmcnt(0) lgkmcnt(0)
	v_mul_f64 v[4:5], v[2:3], v[10:11]
	v_mul_f64 v[6:7], v[0:1], v[10:11]
	s_delay_alu instid0(VALU_DEP_2) | instskip(SKIP_2) | instid1(VALU_DEP_4)
	v_fma_f64 v[4:5], v[0:1], v[8:9], -v[4:5]
	v_add_co_u32 v0, vcc_lo, 0xa000, v68
	v_add_co_ci_u32_e32 v1, vcc_lo, 0, v69, vcc_lo
	v_fma_f64 v[6:7], v[2:3], v[8:9], v[6:7]
	global_load_b128 v[8:11], v[0:1], off offset:2560
	ds_load_b128 v[0:3], v86 offset:43520
	s_waitcnt vmcnt(0) lgkmcnt(0)
	v_mul_f64 v[22:23], v[2:3], v[10:11]
	v_mul_f64 v[10:11], v[0:1], v[10:11]
	s_delay_alu instid0(VALU_DEP_2) | instskip(NEXT) | instid1(VALU_DEP_2)
	v_fma_f64 v[0:1], v[0:1], v[8:9], -v[22:23]
	v_fma_f64 v[2:3], v[2:3], v[8:9], v[10:11]
	global_load_b128 v[8:11], v[20:21], off offset:3584
	ds_load_b128 v[20:23], v86 offset:48640
	s_waitcnt vmcnt(0) lgkmcnt(0)
	v_mul_f64 v[28:29], v[22:23], v[10:11]
	v_mul_f64 v[10:11], v[20:21], v[10:11]
	s_delay_alu instid0(VALU_DEP_2) | instskip(NEXT) | instid1(VALU_DEP_2)
	v_fma_f64 v[20:21], v[20:21], v[8:9], -v[28:29]
	v_fma_f64 v[22:23], v[22:23], v[8:9], v[10:11]
	ds_store_b128 v86, v[91:94] offset:5120
	ds_store_b128 v86, v[60:63] offset:2560
	;; [unrolled: 1-line block ×18, first 2 shown]
	ds_store_b128 v86, v[95:98]
	ds_store_b128 v86, v[20:23] offset:48640
	s_waitcnt lgkmcnt(0)
	s_barrier
	buffer_gl0_inv
	ds_load_b128 v[0:3], v86
	ds_load_b128 v[4:7], v86 offset:10240
	ds_load_b128 v[8:11], v86 offset:20480
	s_waitcnt lgkmcnt(1)
	v_add_f64 v[12:13], v[0:1], v[4:5]
	s_waitcnt lgkmcnt(0)
	v_add_f64 v[22:23], v[4:5], -v[8:9]
	v_add_f64 v[24:25], v[8:9], -v[4:5]
	;; [unrolled: 1-line block ×4, first 2 shown]
	v_add_f64 v[16:17], v[12:13], v[8:9]
	v_add_f64 v[12:13], v[2:3], v[6:7]
	s_delay_alu instid0(VALU_DEP_1)
	v_add_f64 v[18:19], v[12:13], v[10:11]
	ds_load_b128 v[12:15], v86 offset:30720
	s_waitcnt lgkmcnt(0)
	v_add_f64 v[20:21], v[8:9], v[12:13]
	v_add_f64 v[32:33], v[10:11], -v[14:15]
	v_add_f64 v[26:27], v[10:11], v[14:15]
	v_add_f64 v[34:35], v[8:9], -v[12:13]
	ds_load_b128 v[8:11], v86 offset:40960
	s_waitcnt lgkmcnt(0)
	v_add_f64 v[36:37], v[6:7], -v[10:11]
	v_add_f64 v[38:39], v[4:5], v[8:9]
	v_add_f64 v[40:41], v[4:5], -v[8:9]
	v_add_f64 v[42:43], v[6:7], v[10:11]
	v_add_f64 v[4:5], v[16:17], v[12:13]
	;; [unrolled: 1-line block ×3, first 2 shown]
	v_add_f64 v[44:45], v[8:9], -v[12:13]
	v_add_f64 v[46:47], v[12:13], -v[8:9]
	;; [unrolled: 1-line block ×4, first 2 shown]
	v_fma_f64 v[89:90], v[26:27], -0.5, v[2:3]
	v_fma_f64 v[38:39], v[38:39], -0.5, v[0:1]
	;; [unrolled: 1-line block ×3, first 2 shown]
	v_add_f64 v[52:53], v[4:5], v[8:9]
	v_add_f64 v[54:55], v[6:7], v[10:11]
	ds_load_b128 v[4:7], v86 offset:15360
	ds_load_b128 v[8:11], v86 offset:5120
	;; [unrolled: 1-line block ×3, first 2 shown]
	v_add_f64 v[48:49], v[28:29], v[48:49]
	v_add_f64 v[28:29], v[30:31], v[50:51]
	v_add_f64 v[44:45], v[22:23], v[44:45]
	v_add_f64 v[24:25], v[24:25], v[46:47]
	s_waitcnt lgkmcnt(1)
	v_add_f64 v[16:17], v[8:9], v[4:5]
	s_waitcnt lgkmcnt(0)
	v_add_f64 v[64:65], v[4:5], -v[12:13]
	v_add_f64 v[66:67], v[12:13], -v[4:5]
	;; [unrolled: 1-line block ×4, first 2 shown]
	v_add_f64 v[56:57], v[16:17], v[12:13]
	v_add_f64 v[16:17], v[10:11], v[6:7]
	s_delay_alu instid0(VALU_DEP_1)
	v_add_f64 v[58:59], v[16:17], v[14:15]
	ds_load_b128 v[16:19], v86 offset:35840
	s_waitcnt lgkmcnt(0)
	v_add_f64 v[71:72], v[14:15], v[18:19]
	v_add_f64 v[60:61], v[12:13], v[16:17]
	v_add_f64 v[62:63], v[14:15], -v[18:19]
	v_add_f64 v[73:74], v[12:13], -v[16:17]
	ds_load_b128 v[12:15], v86 offset:46080
	s_waitcnt lgkmcnt(0)
	v_add_f64 v[80:81], v[6:7], -v[14:15]
	v_add_f64 v[82:83], v[4:5], v[12:13]
	v_add_f64 v[84:85], v[4:5], -v[12:13]
	v_add_f64 v[4:5], v[6:7], v[14:15]
	v_add_f64 v[6:7], v[56:57], v[16:17]
	;; [unrolled: 1-line block ×3, first 2 shown]
	v_add_f64 v[58:59], v[12:13], -v[16:17]
	v_add_f64 v[16:17], v[16:17], -v[12:13]
	;; [unrolled: 1-line block ×4, first 2 shown]
	v_fma_f64 v[42:43], v[71:72], -0.5, v[10:11]
	v_fma_f64 v[60:61], v[60:61], -0.5, v[8:9]
	;; [unrolled: 1-line block ×4, first 2 shown]
	v_add_f64 v[6:7], v[6:7], v[12:13]
	v_add_f64 v[12:13], v[56:57], v[14:15]
	v_fma_f64 v[56:57], v[20:21], -0.5, v[0:1]
	v_add_f64 v[30:31], v[66:67], v[16:17]
	v_add_f64 v[46:47], v[78:79], v[18:19]
	v_fma_f64 v[8:9], v[84:85], s[14:15], v[42:43]
	v_fma_f64 v[10:11], v[80:81], s[16:17], v[60:61]
	;; [unrolled: 1-line block ×4, first 2 shown]
	v_add_f64 v[0:1], v[52:53], v[6:7]
	v_add_f64 v[2:3], v[54:55], v[12:13]
	v_add_f64 v[4:5], v[52:53], -v[6:7]
	v_add_f64 v[6:7], v[54:55], -v[12:13]
	v_add_f64 v[54:55], v[76:77], v[87:88]
	v_add_f64 v[52:53], v[64:65], v[58:59]
	v_fma_f64 v[8:9], v[73:74], s[2:3], v[8:9]
	v_fma_f64 v[10:11], v[62:63], s[8:9], v[10:11]
	;; [unrolled: 1-line block ×4, first 2 shown]
	s_delay_alu instid0(VALU_DEP_4) | instskip(NEXT) | instid1(VALU_DEP_4)
	v_fma_f64 v[8:9], v[54:55], s[12:13], v[8:9]
	v_fma_f64 v[10:11], v[52:53], s[12:13], v[10:11]
	s_delay_alu instid0(VALU_DEP_4) | instskip(NEXT) | instid1(VALU_DEP_4)
	v_fma_f64 v[18:19], v[30:31], s[12:13], v[18:19]
	v_fma_f64 v[16:17], v[46:47], s[12:13], v[16:17]
	s_delay_alu instid0(VALU_DEP_4) | instskip(NEXT) | instid1(VALU_DEP_1)
	v_mul_f64 v[12:13], v[8:9], s[8:9]
	v_fma_f64 v[12:13], v[10:11], s[22:23], v[12:13]
	v_mul_f64 v[10:11], v[10:11], s[2:3]
	s_delay_alu instid0(VALU_DEP_1) | instskip(SKIP_2) | instid1(VALU_DEP_2)
	v_fma_f64 v[14:15], v[8:9], s[22:23], v[10:11]
	v_fma_f64 v[8:9], v[36:37], s[16:17], v[56:57]
	;; [unrolled: 1-line block ×4, first 2 shown]
	s_delay_alu instid0(VALU_DEP_2) | instskip(NEXT) | instid1(VALU_DEP_2)
	v_fma_f64 v[10:11], v[34:35], s[2:3], v[10:11]
	v_fma_f64 v[20:21], v[44:45], s[12:13], v[8:9]
	s_delay_alu instid0(VALU_DEP_2) | instskip(NEXT) | instid1(VALU_DEP_2)
	v_fma_f64 v[22:23], v[48:49], s[12:13], v[10:11]
	v_add_f64 v[8:9], v[20:21], v[12:13]
	v_add_f64 v[12:13], v[20:21], -v[12:13]
	v_mul_f64 v[20:21], v[16:17], s[16:17]
	v_mul_f64 v[16:17], v[16:17], s[12:13]
	v_add_f64 v[10:11], v[22:23], v[14:15]
	v_add_f64 v[14:15], v[22:23], -v[14:15]
	s_delay_alu instid0(VALU_DEP_4) | instskip(NEXT) | instid1(VALU_DEP_4)
	v_fma_f64 v[20:21], v[18:19], s[12:13], v[20:21]
	v_fma_f64 v[22:23], v[18:19], s[14:15], v[16:17]
	;; [unrolled: 1-line block ×5, first 2 shown]
	s_delay_alu instid0(VALU_DEP_3) | instskip(NEXT) | instid1(VALU_DEP_3)
	v_fma_f64 v[16:17], v[36:37], s[8:9], v[16:17]
	v_fma_f64 v[38:39], v[36:37], s[2:3], v[38:39]
	s_delay_alu instid0(VALU_DEP_3) | instskip(SKIP_1) | instid1(VALU_DEP_4)
	v_fma_f64 v[18:19], v[40:41], s[2:3], v[18:19]
	v_fma_f64 v[36:37], v[36:37], s[14:15], v[56:57]
	;; [unrolled: 1-line block ×3, first 2 shown]
	s_delay_alu instid0(VALU_DEP_4)
	v_fma_f64 v[38:39], v[24:25], s[12:13], v[38:39]
	v_fma_f64 v[24:25], v[34:35], s[14:15], v[26:27]
	v_fma_f64 v[26:27], v[62:63], s[16:17], v[71:72]
	v_fma_f64 v[58:59], v[28:29], s[12:13], v[18:19]
	v_fma_f64 v[32:33], v[32:33], s[2:3], v[36:37]
	v_add_f64 v[16:17], v[50:51], v[20:21]
	v_add_f64 v[20:21], v[50:51], -v[20:21]
	v_fma_f64 v[24:25], v[40:41], s[8:9], v[24:25]
	v_fma_f64 v[26:27], v[80:81], s[2:3], v[26:27]
	v_fma_f64 v[40:41], v[40:41], s[16:17], v[89:90]
	v_add_f64 v[18:19], v[58:59], v[22:23]
	v_add_f64 v[22:23], v[58:59], -v[22:23]
	v_fma_f64 v[50:51], v[28:29], s[12:13], v[24:25]
	v_fma_f64 v[24:25], v[73:74], s[14:15], v[82:83]
	;; [unrolled: 1-line block ×5, first 2 shown]
	s_delay_alu instid0(VALU_DEP_4) | instskip(NEXT) | instid1(VALU_DEP_1)
	v_fma_f64 v[24:25], v[84:85], s[8:9], v[24:25]
	v_fma_f64 v[24:25], v[46:47], s[12:13], v[24:25]
	s_delay_alu instid0(VALU_DEP_1) | instskip(SKIP_1) | instid1(VALU_DEP_2)
	v_mul_f64 v[28:29], v[24:25], s[16:17]
	v_mul_f64 v[24:25], v[24:25], s[18:19]
	v_fma_f64 v[28:29], v[26:27], s[18:19], v[28:29]
	s_delay_alu instid0(VALU_DEP_2) | instskip(NEXT) | instid1(VALU_DEP_2)
	v_fma_f64 v[30:31], v[26:27], s[14:15], v[24:25]
	v_add_f64 v[24:25], v[38:39], v[28:29]
	v_add_f64 v[28:29], v[38:39], -v[28:29]
	v_fma_f64 v[38:39], v[84:85], s[16:17], v[42:43]
	v_fma_f64 v[42:43], v[80:81], s[14:15], v[60:61]
	v_add_f64 v[26:27], v[50:51], v[30:31]
	v_add_f64 v[30:31], v[50:51], -v[30:31]
	s_delay_alu instid0(VALU_DEP_4) | instskip(NEXT) | instid1(VALU_DEP_4)
	v_fma_f64 v[38:39], v[73:74], s[8:9], v[38:39]
	v_fma_f64 v[36:37], v[62:63], s[2:3], v[42:43]
	;; [unrolled: 1-line block ×3, first 2 shown]
	s_delay_alu instid0(VALU_DEP_3) | instskip(NEXT) | instid1(VALU_DEP_3)
	v_fma_f64 v[38:39], v[54:55], s[12:13], v[38:39]
	v_fma_f64 v[32:33], v[52:53], s[12:13], v[36:37]
	s_delay_alu instid0(VALU_DEP_2) | instskip(SKIP_1) | instid1(VALU_DEP_2)
	v_mul_f64 v[34:35], v[38:39], s[8:9]
	v_mul_f64 v[36:37], v[38:39], s[20:21]
	v_fma_f64 v[38:39], v[32:33], s[20:21], v[34:35]
	s_delay_alu instid0(VALU_DEP_2) | instskip(NEXT) | instid1(VALU_DEP_2)
	v_fma_f64 v[44:45], v[32:33], s[2:3], v[36:37]
	v_add_f64 v[32:33], v[40:41], v[38:39]
	s_delay_alu instid0(VALU_DEP_2)
	v_add_f64 v[34:35], v[42:43], v[44:45]
	v_add_f64 v[36:37], v[40:41], -v[38:39]
	v_add_f64 v[38:39], v[42:43], -v[44:45]
	ds_load_b128 v[40:43], v86 offset:7680
	ds_load_b128 v[44:47], v86 offset:48640
	;; [unrolled: 1-line block ×10, first 2 shown]
	s_waitcnt lgkmcnt(0)
	s_barrier
	buffer_gl0_inv
	ds_store_b128 v99, v[0:3]
	ds_store_b128 v99, v[4:7] offset:80
	ds_store_b128 v99, v[8:11] offset:16
	;; [unrolled: 1-line block ×9, first 2 shown]
	v_add_f64 v[0:1], v[48:49], v[52:53]
	v_add_f64 v[2:3], v[50:51], v[54:55]
	;; [unrolled: 1-line block ×3, first 2 shown]
	v_add_f64 v[34:35], v[71:72], -v[76:77]
	v_add_f64 v[20:21], v[80:81], -v[76:77]
	v_add_f64 v[22:23], v[76:77], -v[80:81]
	v_add_f64 v[32:33], v[73:74], -v[78:79]
	v_add_f64 v[8:9], v[52:53], -v[71:72]
	v_add_f64 v[16:17], v[71:72], -v[52:53]
	v_add_f64 v[6:7], v[73:74], v[78:79]
	v_add_f64 v[10:11], v[54:55], -v[73:74]
	v_add_f64 v[18:19], v[73:74], -v[54:55]
	;; [unrolled: 1-line block ×3, first 2 shown]
	v_add_f64 v[12:13], v[52:53], v[80:81]
	v_add_f64 v[38:39], v[52:53], -v[80:81]
	v_add_f64 v[14:15], v[54:55], v[82:83]
	v_add_f64 v[24:25], v[82:83], -v[78:79]
	v_add_f64 v[26:27], v[78:79], -v[82:83]
	v_add_f64 v[52:53], v[60:61], v[64:65]
	v_add_f64 v[84:85], v[44:45], -v[64:65]
	v_add_f64 v[54:55], v[62:63], -v[66:67]
	;; [unrolled: 1-line block ×3, first 2 shown]
	v_add_f64 v[0:1], v[0:1], v[71:72]
	v_add_f64 v[2:3], v[2:3], v[73:74]
	v_add_f64 v[71:72], v[56:57], -v[60:61]
	v_add_f64 v[73:74], v[60:61], -v[56:57]
	v_fma_f64 v[89:90], v[4:5], -0.5, v[48:49]
	v_fma_f64 v[91:92], v[6:7], -0.5, v[50:51]
	;; [unrolled: 1-line block ×4, first 2 shown]
	v_add_f64 v[26:27], v[18:19], v[26:27]
	v_fma_f64 v[52:53], v[52:53], -0.5, v[40:41]
	v_add_f64 v[0:1], v[0:1], v[76:77]
	v_add_f64 v[2:3], v[2:3], v[78:79]
	;; [unrolled: 1-line block ×3, first 2 shown]
	v_add_f64 v[78:79], v[58:59], -v[62:63]
	s_delay_alu instid0(VALU_DEP_4)
	v_add_f64 v[28:29], v[0:1], v[80:81]
	v_add_f64 v[0:1], v[40:41], v[56:57]
	v_add_f64 v[30:31], v[2:3], v[82:83]
	v_add_f64 v[2:3], v[42:43], v[58:59]
	v_add_f64 v[82:83], v[56:57], v[44:45]
	v_add_f64 v[56:57], v[56:57], -v[44:45]
	v_fma_f64 v[76:77], v[76:77], -0.5, v[42:43]
	v_add_f64 v[80:81], v[58:59], -v[46:47]
	v_add_f64 v[0:1], v[0:1], v[60:61]
	v_add_f64 v[60:61], v[60:61], -v[64:65]
	v_add_f64 v[2:3], v[2:3], v[62:63]
	;; [unrolled: 2-line block ×3, first 2 shown]
	v_fma_f64 v[40:41], v[82:83], -0.5, v[40:41]
	v_add_f64 v[0:1], v[0:1], v[64:65]
	v_add_f64 v[64:65], v[64:65], -v[44:45]
	v_add_f64 v[2:3], v[2:3], v[66:67]
	v_add_f64 v[66:67], v[66:67], -v[46:47]
	v_fma_f64 v[42:43], v[58:59], -0.5, v[42:43]
	v_add_f64 v[58:59], v[71:72], v[84:85]
	v_add_f64 v[71:72], v[78:79], v[87:88]
	v_fma_f64 v[18:19], v[54:55], s[14:15], v[40:41]
	v_add_f64 v[44:45], v[0:1], v[44:45]
	v_add_f64 v[46:47], v[2:3], v[46:47]
	s_delay_alu instid0(VALU_DEP_3) | instskip(NEXT) | instid1(VALU_DEP_3)
	v_fma_f64 v[18:19], v[80:81], s[8:9], v[18:19]
	v_add_f64 v[0:1], v[28:29], v[44:45]
	v_add_f64 v[4:5], v[28:29], -v[44:45]
	v_add_f64 v[44:45], v[8:9], v[20:21]
	v_fma_f64 v[8:9], v[56:57], s[14:15], v[76:77]
	v_add_f64 v[2:3], v[30:31], v[46:47]
	v_add_f64 v[6:7], v[30:31], -v[46:47]
	v_add_f64 v[46:47], v[10:11], v[24:25]
	v_fma_f64 v[10:11], v[80:81], s[16:17], v[52:53]
	v_add_f64 v[30:31], v[62:63], v[66:67]
	v_add_f64 v[28:29], v[73:74], v[64:65]
	v_fma_f64 v[8:9], v[60:61], s[2:3], v[8:9]
	s_delay_alu instid0(VALU_DEP_4) | instskip(NEXT) | instid1(VALU_DEP_3)
	v_fma_f64 v[10:11], v[54:55], s[8:9], v[10:11]
	v_fma_f64 v[18:19], v[28:29], s[12:13], v[18:19]
	s_delay_alu instid0(VALU_DEP_3) | instskip(NEXT) | instid1(VALU_DEP_3)
	v_fma_f64 v[8:9], v[71:72], s[12:13], v[8:9]
	v_fma_f64 v[10:11], v[58:59], s[12:13], v[10:11]
	s_delay_alu instid0(VALU_DEP_2) | instskip(NEXT) | instid1(VALU_DEP_1)
	v_mul_f64 v[12:13], v[8:9], s[8:9]
	v_fma_f64 v[12:13], v[10:11], s[22:23], v[12:13]
	v_mul_f64 v[10:11], v[10:11], s[2:3]
	s_delay_alu instid0(VALU_DEP_1) | instskip(SKIP_2) | instid1(VALU_DEP_2)
	v_fma_f64 v[14:15], v[8:9], s[22:23], v[10:11]
	v_fma_f64 v[10:11], v[38:39], s[14:15], v[91:92]
	;; [unrolled: 1-line block ×4, first 2 shown]
	s_delay_alu instid0(VALU_DEP_2) | instskip(NEXT) | instid1(VALU_DEP_2)
	v_fma_f64 v[8:9], v[32:33], s[8:9], v[8:9]
	v_fma_f64 v[24:25], v[46:47], s[12:13], v[10:11]
	s_delay_alu instid0(VALU_DEP_2) | instskip(NEXT) | instid1(VALU_DEP_2)
	v_fma_f64 v[20:21], v[44:45], s[12:13], v[8:9]
	v_add_f64 v[10:11], v[24:25], v[14:15]
	v_add_f64 v[14:15], v[24:25], -v[14:15]
	v_add_f64 v[24:25], v[16:17], v[22:23]
	v_fma_f64 v[16:17], v[60:61], s[16:17], v[42:43]
	v_add_f64 v[8:9], v[20:21], v[12:13]
	v_add_f64 v[12:13], v[20:21], -v[12:13]
	s_delay_alu instid0(VALU_DEP_3) | instskip(NEXT) | instid1(VALU_DEP_1)
	v_fma_f64 v[16:17], v[56:57], s[2:3], v[16:17]
	v_fma_f64 v[16:17], v[30:31], s[12:13], v[16:17]
	s_delay_alu instid0(VALU_DEP_1) | instskip(SKIP_1) | instid1(VALU_DEP_2)
	v_mul_f64 v[20:21], v[16:17], s[16:17]
	v_mul_f64 v[16:17], v[16:17], s[12:13]
	v_fma_f64 v[20:21], v[18:19], s[12:13], v[20:21]
	s_delay_alu instid0(VALU_DEP_2) | instskip(SKIP_3) | instid1(VALU_DEP_3)
	v_fma_f64 v[22:23], v[18:19], s[14:15], v[16:17]
	v_fma_f64 v[16:17], v[32:33], s[14:15], v[48:49]
	;; [unrolled: 1-line block ×5, first 2 shown]
	s_delay_alu instid0(VALU_DEP_3) | instskip(NEXT) | instid1(VALU_DEP_3)
	v_fma_f64 v[48:49], v[36:37], s[2:3], v[48:49]
	v_fma_f64 v[18:19], v[38:39], s[2:3], v[18:19]
	;; [unrolled: 1-line block ×3, first 2 shown]
	s_delay_alu instid0(VALU_DEP_4) | instskip(NEXT) | instid1(VALU_DEP_4)
	v_fma_f64 v[62:63], v[24:25], s[12:13], v[16:17]
	v_fma_f64 v[48:49], v[24:25], s[12:13], v[48:49]
	;; [unrolled: 1-line block ×5, first 2 shown]
	v_add_f64 v[16:17], v[62:63], v[20:21]
	v_add_f64 v[20:21], v[62:63], -v[20:21]
	v_fma_f64 v[24:25], v[38:39], s[8:9], v[24:25]
	v_fma_f64 v[38:39], v[38:39], s[16:17], v[91:92]
	v_add_f64 v[18:19], v[64:65], v[22:23]
	v_add_f64 v[22:23], v[64:65], -v[22:23]
	s_delay_alu instid0(VALU_DEP_4)
	v_fma_f64 v[50:51], v[26:27], s[12:13], v[24:25]
	v_fma_f64 v[24:25], v[60:61], s[14:15], v[42:43]
	;; [unrolled: 1-line block ×16, first 2 shown]
	v_mul_f64 v[28:29], v[24:25], s[16:17]
	v_mul_f64 v[24:25], v[24:25], s[18:19]
	v_mul_f64 v[34:35], v[38:39], s[8:9]
	v_mul_f64 v[36:37], v[38:39], s[20:21]
	s_delay_alu instid0(VALU_DEP_4) | instskip(NEXT) | instid1(VALU_DEP_4)
	v_fma_f64 v[28:29], v[26:27], s[18:19], v[28:29]
	v_fma_f64 v[30:31], v[26:27], s[14:15], v[24:25]
	s_delay_alu instid0(VALU_DEP_4) | instskip(NEXT) | instid1(VALU_DEP_4)
	v_fma_f64 v[38:39], v[32:33], s[20:21], v[34:35]
	v_fma_f64 v[44:45], v[32:33], s[2:3], v[36:37]
	s_delay_alu instid0(VALU_DEP_4) | instskip(NEXT) | instid1(VALU_DEP_4)
	v_add_f64 v[24:25], v[48:49], v[28:29]
	v_add_f64 v[26:27], v[50:51], v[30:31]
	s_delay_alu instid0(VALU_DEP_4) | instskip(NEXT) | instid1(VALU_DEP_4)
	v_add_f64 v[32:33], v[40:41], v[38:39]
	v_add_f64 v[34:35], v[42:43], v[44:45]
	v_add_f64 v[28:29], v[48:49], -v[28:29]
	v_add_f64 v[30:31], v[50:51], -v[30:31]
	;; [unrolled: 1-line block ×4, first 2 shown]
	ds_store_b128 v104, v[0:3]
	ds_store_b128 v104, v[8:11] offset:16
	ds_store_b128 v104, v[16:19] offset:32
	;; [unrolled: 1-line block ×9, first 2 shown]
	s_waitcnt lgkmcnt(0)
	s_barrier
	buffer_gl0_inv
	scratch_load_b128 v[6:9], off, off offset:344 ; 16-byte Folded Reload
	ds_load_b128 v[0:3], v86 offset:5120
	s_waitcnt lgkmcnt(0)
	v_mul_f64 v[4:5], v[130:131], v[2:3]
	s_delay_alu instid0(VALU_DEP_1) | instskip(SKIP_1) | instid1(VALU_DEP_1)
	v_fma_f64 v[32:33], v[128:129], v[0:1], v[4:5]
	v_mul_f64 v[0:1], v[130:131], v[0:1]
	v_fma_f64 v[26:27], v[128:129], v[2:3], -v[0:1]
	ds_load_b128 v[0:3], v86 offset:10240
	s_waitcnt lgkmcnt(0)
	v_mul_f64 v[4:5], v[134:135], v[2:3]
	s_delay_alu instid0(VALU_DEP_1) | instskip(SKIP_1) | instid1(VALU_DEP_1)
	v_fma_f64 v[28:29], v[132:133], v[0:1], v[4:5]
	v_mul_f64 v[0:1], v[134:135], v[0:1]
	v_fma_f64 v[30:31], v[132:133], v[2:3], -v[0:1]
	ds_load_b128 v[0:3], v86 offset:15360
	s_waitcnt vmcnt(0) lgkmcnt(0)
	v_mul_f64 v[4:5], v[8:9], v[2:3]
	s_delay_alu instid0(VALU_DEP_1) | instskip(SKIP_1) | instid1(VALU_DEP_1)
	v_fma_f64 v[35:36], v[6:7], v[0:1], v[4:5]
	v_mul_f64 v[0:1], v[8:9], v[0:1]
	v_fma_f64 v[37:38], v[6:7], v[2:3], -v[0:1]
	scratch_load_b128 v[6:9], off, off offset:360 ; 16-byte Folded Reload
	ds_load_b128 v[0:3], v86 offset:20480
	v_add_f64 v[14:15], v[26:27], v[37:38]
	s_waitcnt vmcnt(0) lgkmcnt(0)
	v_mul_f64 v[4:5], v[8:9], v[2:3]
	s_delay_alu instid0(VALU_DEP_1) | instskip(SKIP_1) | instid1(VALU_DEP_1)
	v_fma_f64 v[39:40], v[6:7], v[0:1], v[4:5]
	v_mul_f64 v[0:1], v[8:9], v[0:1]
	v_fma_f64 v[41:42], v[6:7], v[2:3], -v[0:1]
	scratch_load_b128 v[6:9], off, off offset:376 ; 16-byte Folded Reload
	ds_load_b128 v[0:3], v86 offset:25600
	s_waitcnt vmcnt(0) lgkmcnt(0)
	v_mul_f64 v[4:5], v[8:9], v[2:3]
	s_delay_alu instid0(VALU_DEP_1) | instskip(SKIP_1) | instid1(VALU_DEP_1)
	v_fma_f64 v[43:44], v[6:7], v[0:1], v[4:5]
	v_mul_f64 v[0:1], v[8:9], v[0:1]
	v_fma_f64 v[45:46], v[6:7], v[2:3], -v[0:1]
	scratch_load_b128 v[6:9], off, off offset:392 ; 16-byte Folded Reload
	ds_load_b128 v[0:3], v86 offset:30720
	v_add_f64 v[14:15], v[14:15], v[45:46]
	s_waitcnt vmcnt(0) lgkmcnt(0)
	v_mul_f64 v[4:5], v[8:9], v[2:3]
	s_delay_alu instid0(VALU_DEP_1) | instskip(SKIP_1) | instid1(VALU_DEP_1)
	v_fma_f64 v[47:48], v[6:7], v[0:1], v[4:5]
	v_mul_f64 v[0:1], v[8:9], v[0:1]
	v_fma_f64 v[49:50], v[6:7], v[2:3], -v[0:1]
	scratch_load_b128 v[6:9], off, off offset:408 ; 16-byte Folded Reload
	;; [unrolled: 17-line block ×3, first 2 shown]
	ds_load_b128 v[0:3], v86 offset:46080
	s_waitcnt vmcnt(0) lgkmcnt(0)
	v_mul_f64 v[4:5], v[8:9], v[2:3]
	s_delay_alu instid0(VALU_DEP_1) | instskip(SKIP_1) | instid1(VALU_DEP_2)
	v_fma_f64 v[59:60], v[6:7], v[0:1], v[4:5]
	v_mul_f64 v[0:1], v[8:9], v[0:1]
	v_add_f64 v[138:139], v[35:36], -v[59:60]
	s_delay_alu instid0(VALU_DEP_2)
	v_fma_f64 v[61:62], v[6:7], v[2:3], -v[0:1]
	scratch_load_b128 v[6:9], off, off offset:456 ; 16-byte Folded Reload
	ds_load_b128 v[0:3], v86 offset:7680
	v_add_f64 v[14:15], v[14:15], v[61:62]
	v_add_f64 v[132:133], v[37:38], -v[61:62]
	s_waitcnt vmcnt(0) lgkmcnt(0)
	v_mul_f64 v[4:5], v[8:9], v[2:3]
	s_delay_alu instid0(VALU_DEP_1)
	v_fma_f64 v[118:119], v[6:7], v[0:1], v[4:5]
	v_mul_f64 v[0:1], v[8:9], v[0:1]
	ds_load_b128 v[8:11], v86 offset:12800
	v_fma_f64 v[116:117], v[6:7], v[2:3], -v[0:1]
	scratch_load_b128 v[2:5], off, off offset:472 ; 16-byte Folded Reload
	v_add_f64 v[6:7], v[45:46], -v[53:54]
	s_waitcnt vmcnt(0) lgkmcnt(0)
	v_mul_f64 v[0:1], v[4:5], v[10:11]
	s_delay_alu instid0(VALU_DEP_1) | instskip(SKIP_1) | instid1(VALU_DEP_1)
	v_fma_f64 v[130:131], v[2:3], v[8:9], v[0:1]
	v_mul_f64 v[0:1], v[4:5], v[8:9]
	v_fma_f64 v[112:113], v[2:3], v[10:11], -v[0:1]
	scratch_load_b128 v[2:5], off, off offset:488 ; 16-byte Folded Reload
	ds_load_b128 v[8:11], v86 offset:17920
	s_waitcnt vmcnt(0) lgkmcnt(0)
	v_mul_f64 v[0:1], v[4:5], v[10:11]
	s_delay_alu instid0(VALU_DEP_1) | instskip(SKIP_1) | instid1(VALU_DEP_1)
	v_fma_f64 v[128:129], v[2:3], v[8:9], v[0:1]
	v_mul_f64 v[0:1], v[4:5], v[8:9]
	v_fma_f64 v[114:115], v[2:3], v[10:11], -v[0:1]
	scratch_load_b128 v[2:5], off, off offset:504 ; 16-byte Folded Reload
	ds_load_b128 v[8:11], v86 offset:23040
	s_waitcnt vmcnt(0) lgkmcnt(0)
	v_mul_f64 v[0:1], v[4:5], v[10:11]
	s_delay_alu instid0(VALU_DEP_1) | instskip(SKIP_2) | instid1(VALU_DEP_2)
	v_fma_f64 v[110:111], v[2:3], v[8:9], v[0:1]
	v_mul_f64 v[0:1], v[4:5], v[8:9]
	v_add_f64 v[4:5], v[39:40], -v[47:48]
	v_fma_f64 v[108:109], v[2:3], v[10:11], -v[0:1]
	scratch_load_b128 v[0:3], off, off offset:520 ; 16-byte Folded Reload
	ds_load_b128 v[8:11], v86 offset:28160
	s_waitcnt vmcnt(0) lgkmcnt(0)
	v_mul_f64 v[12:13], v[2:3], v[10:11]
	s_delay_alu instid0(VALU_DEP_1) | instskip(SKIP_1) | instid1(VALU_DEP_1)
	v_fma_f64 v[90:91], v[0:1], v[8:9], v[12:13]
	v_mul_f64 v[8:9], v[2:3], v[8:9]
	v_fma_f64 v[88:89], v[0:1], v[10:11], -v[8:9]
	scratch_load_b128 v[0:3], off, off offset:536 ; 16-byte Folded Reload
	ds_load_b128 v[8:11], v86 offset:33280
	s_waitcnt vmcnt(0) lgkmcnt(0)
	v_mul_f64 v[12:13], v[2:3], v[10:11]
	s_delay_alu instid0(VALU_DEP_1) | instskip(SKIP_1) | instid1(VALU_DEP_1)
	v_fma_f64 v[94:95], v[0:1], v[8:9], v[12:13]
	v_mul_f64 v[8:9], v[2:3], v[8:9]
	;; [unrolled: 8-line block ×4, first 2 shown]
	v_fma_f64 v[104:105], v[0:1], v[10:11], -v[8:9]
	scratch_load_b128 v[0:3], off, off offset:584 ; 16-byte Folded Reload
	ds_load_b128 v[8:11], v86 offset:48640
	s_waitcnt vmcnt(0) lgkmcnt(0)
	v_mul_f64 v[12:13], v[2:3], v[10:11]
	s_delay_alu instid0(VALU_DEP_1) | instskip(SKIP_3) | instid1(VALU_DEP_3)
	v_fma_f64 v[106:107], v[0:1], v[8:9], v[12:13]
	v_mul_f64 v[8:9], v[2:3], v[8:9]
	v_add_f64 v[12:13], v[39:40], v[47:48]
	v_add_f64 v[2:3], v[30:31], -v[57:58]
	v_fma_f64 v[100:101], v[0:1], v[10:11], -v[8:9]
	ds_load_b128 v[8:11], v86
	v_add_f64 v[0:1], v[28:29], -v[55:56]
	s_waitcnt lgkmcnt(0)
	v_fma_f64 v[84:85], v[12:13], -0.5, v[8:9]
	v_add_f64 v[12:13], v[28:29], v[55:56]
	s_delay_alu instid0(VALU_DEP_1) | instskip(SKIP_2) | instid1(VALU_DEP_2)
	v_fma_f64 v[126:127], v[12:13], -0.5, v[8:9]
	v_add_f64 v[12:13], v[41:42], v[49:50]
	v_add_f64 v[8:9], v[8:9], v[28:29]
	v_fma_f64 v[71:72], v[12:13], -0.5, v[10:11]
	v_add_f64 v[12:13], v[30:31], v[57:58]
	s_delay_alu instid0(VALU_DEP_3) | instskip(NEXT) | instid1(VALU_DEP_2)
	v_add_f64 v[8:9], v[8:9], v[39:40]
	v_fma_f64 v[73:74], v[12:13], -0.5, v[10:11]
	v_add_f64 v[10:11], v[10:11], v[30:31]
	v_add_f64 v[12:13], v[32:33], v[35:36]
	s_delay_alu instid0(VALU_DEP_4) | instskip(NEXT) | instid1(VALU_DEP_3)
	v_add_f64 v[8:9], v[8:9], v[47:48]
	v_add_f64 v[10:11], v[10:11], v[41:42]
	s_delay_alu instid0(VALU_DEP_3) | instskip(NEXT) | instid1(VALU_DEP_3)
	v_add_f64 v[12:13], v[12:13], v[43:44]
	v_add_f64 v[16:17], v[8:9], v[55:56]
	v_add_f64 v[8:9], v[43:44], -v[51:52]
	s_delay_alu instid0(VALU_DEP_4) | instskip(NEXT) | instid1(VALU_DEP_4)
	v_add_f64 v[10:11], v[10:11], v[49:50]
	v_add_f64 v[12:13], v[12:13], v[51:52]
	s_delay_alu instid0(VALU_DEP_2) | instskip(NEXT) | instid1(VALU_DEP_2)
	v_add_f64 v[18:19], v[10:11], v[57:58]
	v_add_f64 v[12:13], v[12:13], v[59:60]
	s_delay_alu instid0(VALU_DEP_2) | instskip(NEXT) | instid1(VALU_DEP_2)
	v_add_f64 v[82:83], v[18:19], v[14:15]
	v_add_f64 v[80:81], v[16:17], v[12:13]
	v_add_f64 v[67:68], v[16:17], -v[12:13]
	v_add_f64 v[69:70], v[18:19], -v[14:15]
	;; [unrolled: 1-line block ×5, first 2 shown]
	s_delay_alu instid0(VALU_DEP_2) | instskip(SKIP_2) | instid1(VALU_DEP_1)
	v_add_f64 v[76:77], v[16:17], v[18:19]
	v_add_f64 v[16:17], v[30:31], -v[41:42]
	v_add_f64 v[18:19], v[57:58], -v[49:50]
	v_add_f64 v[78:79], v[16:17], v[18:19]
	v_add_f64 v[16:17], v[35:36], -v[43:44]
	v_add_f64 v[18:19], v[59:60], -v[51:52]
	s_delay_alu instid0(VALU_DEP_1) | instskip(SKIP_2) | instid1(VALU_DEP_1)
	v_add_f64 v[24:25], v[16:17], v[18:19]
	v_add_f64 v[16:17], v[37:38], -v[45:46]
	v_add_f64 v[18:19], v[61:62], -v[53:54]
	v_add_f64 v[22:23], v[16:17], v[18:19]
	v_add_f64 v[16:17], v[43:44], v[51:52]
	s_delay_alu instid0(VALU_DEP_1) | instskip(SKIP_1) | instid1(VALU_DEP_2)
	v_fma_f64 v[134:135], v[16:17], -0.5, v[32:33]
	v_add_f64 v[16:17], v[45:46], v[53:54]
	v_fma_f64 v[10:11], v[132:133], s[16:17], v[134:135]
	s_delay_alu instid0(VALU_DEP_2) | instskip(NEXT) | instid1(VALU_DEP_2)
	v_fma_f64 v[12:13], v[16:17], -0.5, v[26:27]
	v_fma_f64 v[10:11], v[6:7], s[8:9], v[10:11]
	s_delay_alu instid0(VALU_DEP_2) | instskip(NEXT) | instid1(VALU_DEP_2)
	v_fma_f64 v[16:17], v[138:139], s[14:15], v[12:13]
	v_fma_f64 v[10:11], v[24:25], s[12:13], v[10:11]
	s_delay_alu instid0(VALU_DEP_2) | instskip(NEXT) | instid1(VALU_DEP_1)
	v_fma_f64 v[16:17], v[8:9], s[2:3], v[16:17]
	v_fma_f64 v[16:17], v[22:23], s[12:13], v[16:17]
	s_delay_alu instid0(VALU_DEP_1) | instskip(SKIP_1) | instid1(VALU_DEP_2)
	v_mul_f64 v[18:19], v[16:17], s[8:9]
	v_mul_f64 v[16:17], v[16:17], s[22:23]
	v_fma_f64 v[20:21], v[10:11], s[22:23], v[18:19]
	v_fma_f64 v[18:19], v[0:1], s[14:15], v[71:72]
	s_delay_alu instid0(VALU_DEP_3) | instskip(SKIP_1) | instid1(VALU_DEP_3)
	v_fma_f64 v[10:11], v[10:11], s[2:3], v[16:17]
	v_fma_f64 v[16:17], v[2:3], s[16:17], v[84:85]
	;; [unrolled: 1-line block ×3, first 2 shown]
	s_delay_alu instid0(VALU_DEP_2) | instskip(NEXT) | instid1(VALU_DEP_2)
	v_fma_f64 v[16:17], v[14:15], s[8:9], v[16:17]
	v_fma_f64 v[65:66], v[78:79], s[12:13], v[18:19]
	s_delay_alu instid0(VALU_DEP_2) | instskip(NEXT) | instid1(VALU_DEP_2)
	v_fma_f64 v[63:64], v[76:77], s[12:13], v[16:17]
	v_add_f64 v[18:19], v[65:66], v[10:11]
	v_add_f64 v[65:66], v[65:66], -v[10:11]
	v_add_f64 v[10:11], v[39:40], -v[28:29]
	;; [unrolled: 1-line block ×3, first 2 shown]
	v_add_f64 v[34:35], v[35:36], v[59:60]
	v_add_f64 v[43:44], v[45:46], -v[37:38]
	v_add_f64 v[36:37], v[37:38], v[61:62]
	v_add_f64 v[16:17], v[63:64], v[20:21]
	v_add_f64 v[63:64], v[63:64], -v[20:21]
	v_add_f64 v[20:21], v[47:48], -v[55:56]
	;; [unrolled: 1-line block ×6, first 2 shown]
	ds_load_b128 v[51:54], v86 offset:2560
	s_waitcnt lgkmcnt(0)
	s_barrier
	buffer_gl0_inv
	v_add_f64 v[60:61], v[130:131], -v[102:103]
	v_fma_f64 v[32:33], v[34:35], -0.5, v[32:33]
	v_fma_f64 v[26:27], v[36:37], -0.5, v[26:27]
	v_add_f64 v[10:11], v[10:11], v[20:21]
	v_add_f64 v[20:21], v[28:29], v[30:31]
	;; [unrolled: 1-line block ×4, first 2 shown]
	v_fma_f64 v[40:41], v[4:5], s[16:17], v[73:74]
	v_fma_f64 v[30:31], v[6:7], s[14:15], v[32:33]
	;; [unrolled: 1-line block ×15, first 2 shown]
	s_delay_alu instid0(VALU_DEP_2) | instskip(SKIP_1) | instid1(VALU_DEP_3)
	v_mul_f64 v[38:39], v[28:29], s[16:17]
	v_mul_f64 v[28:29], v[28:29], s[12:13]
	;; [unrolled: 1-line block ×4, first 2 shown]
	s_delay_alu instid0(VALU_DEP_4) | instskip(NEXT) | instid1(VALU_DEP_4)
	v_fma_f64 v[38:39], v[30:31], s[12:13], v[38:39]
	v_fma_f64 v[30:31], v[30:31], s[14:15], v[28:29]
	;; [unrolled: 1-line block ×3, first 2 shown]
	s_delay_alu instid0(VALU_DEP_4) | instskip(NEXT) | instid1(VALU_DEP_3)
	v_fma_f64 v[26:27], v[32:33], s[14:15], v[26:27]
	v_add_f64 v[57:58], v[40:41], v[30:31]
	s_delay_alu instid0(VALU_DEP_3) | instskip(SKIP_1) | instid1(VALU_DEP_2)
	v_fma_f64 v[28:29], v[2:3], s[8:9], v[28:29]
	v_add_f64 v[30:31], v[40:41], -v[30:31]
	v_fma_f64 v[28:29], v[10:11], s[12:13], v[28:29]
	s_delay_alu instid0(VALU_DEP_1) | instskip(SKIP_2) | instid1(VALU_DEP_1)
	v_add_f64 v[55:56], v[28:29], v[38:39]
	v_add_f64 v[28:29], v[28:29], -v[38:39]
	v_fma_f64 v[38:39], v[14:15], s[16:17], v[126:127]
	v_fma_f64 v[38:39], v[2:3], s[2:3], v[38:39]
	;; [unrolled: 1-line block ×3, first 2 shown]
	s_delay_alu instid0(VALU_DEP_2) | instskip(SKIP_1) | instid1(VALU_DEP_3)
	v_fma_f64 v[10:11], v[10:11], s[12:13], v[38:39]
	v_fma_f64 v[38:39], v[4:5], s[14:15], v[73:74]
	;; [unrolled: 1-line block ×3, first 2 shown]
	s_delay_alu instid0(VALU_DEP_2) | instskip(SKIP_1) | instid1(VALU_DEP_3)
	v_fma_f64 v[38:39], v[0:1], s[8:9], v[38:39]
	v_fma_f64 v[0:1], v[0:1], s[16:17], v[71:72]
	;; [unrolled: 1-line block ×3, first 2 shown]
	s_delay_alu instid0(VALU_DEP_3) | instskip(SKIP_1) | instid1(VALU_DEP_4)
	v_fma_f64 v[20:21], v[20:21], s[12:13], v[38:39]
	v_fma_f64 v[39:40], v[32:33], s[18:19], v[34:35]
	;; [unrolled: 1-line block ×3, first 2 shown]
	s_delay_alu instid0(VALU_DEP_3) | instskip(NEXT) | instid1(VALU_DEP_3)
	v_add_f64 v[37:38], v[20:21], v[26:27]
	v_add_f64 v[35:36], v[10:11], v[39:40]
	v_add_f64 v[39:40], v[10:11], -v[39:40]
	v_fma_f64 v[10:11], v[138:139], s[16:17], v[12:13]
	v_fma_f64 v[12:13], v[132:133], s[14:15], v[134:135]
	;; [unrolled: 1-line block ×3, first 2 shown]
	v_add_f64 v[41:42], v[20:21], -v[26:27]
	s_delay_alu instid0(VALU_DEP_4) | instskip(NEXT) | instid1(VALU_DEP_4)
	v_fma_f64 v[8:9], v[8:9], s[8:9], v[10:11]
	v_fma_f64 v[4:5], v[6:7], s[2:3], v[12:13]
	s_delay_alu instid0(VALU_DEP_2) | instskip(NEXT) | instid1(VALU_DEP_2)
	v_fma_f64 v[6:7], v[22:23], s[12:13], v[8:9]
	v_fma_f64 v[4:5], v[24:25], s[12:13], v[4:5]
	s_delay_alu instid0(VALU_DEP_2) | instskip(SKIP_1) | instid1(VALU_DEP_2)
	v_mul_f64 v[8:9], v[6:7], s[8:9]
	v_mul_f64 v[6:7], v[6:7], s[20:21]
	v_fma_f64 v[8:9], v[4:5], s[20:21], v[8:9]
	s_delay_alu instid0(VALU_DEP_2) | instskip(SKIP_1) | instid1(VALU_DEP_3)
	v_fma_f64 v[4:5], v[4:5], s[2:3], v[6:7]
	v_add_f64 v[6:7], v[116:117], v[114:115]
	v_add_f64 v[43:44], v[2:3], v[8:9]
	s_delay_alu instid0(VALU_DEP_3)
	v_add_f64 v[45:46], v[0:1], v[4:5]
	v_add_f64 v[49:50], v[0:1], -v[4:5]
	v_add_f64 v[0:1], v[110:111], v[94:95]
	v_add_f64 v[47:48], v[2:3], -v[8:9]
	ds_store_b128 v75, v[80:83]
	ds_store_b128 v75, v[67:70] offset:800
	ds_store_b128 v75, v[16:19] offset:160
	;; [unrolled: 1-line block ×9, first 2 shown]
	v_add_f64 v[2:3], v[53:54], v[112:113]
	v_add_f64 v[4:5], v[118:119], v[128:129]
	v_add_f64 v[6:7], v[6:7], v[88:89]
	v_add_f64 v[48:49], v[128:129], -v[106:107]
	v_add_f64 v[56:57], v[112:113], -v[104:105]
	;; [unrolled: 1-line block ×3, first 2 shown]
	v_fma_f64 v[32:33], v[0:1], -0.5, v[51:52]
	v_add_f64 v[0:1], v[130:131], v[102:103]
	v_add_f64 v[62:63], v[110:111], -v[94:95]
	v_add_f64 v[68:69], v[114:115], v[100:101]
	v_add_f64 v[30:31], v[128:129], v[106:107]
	v_add_f64 v[28:29], v[90:91], -v[128:129]
	v_add_f64 v[64:65], v[98:99], -v[106:107]
	;; [unrolled: 1-line block ×4, first 2 shown]
	v_add_f64 v[2:3], v[2:3], v[108:109]
	v_add_f64 v[4:5], v[4:5], v[90:91]
	;; [unrolled: 1-line block ×3, first 2 shown]
	v_fma_f64 v[24:25], v[0:1], -0.5, v[51:52]
	v_add_f64 v[0:1], v[108:109], v[96:97]
	v_fma_f64 v[68:69], v[68:69], -0.5, v[116:117]
	v_fma_f64 v[30:31], v[30:31], -0.5, v[118:119]
	v_add_f64 v[28:29], v[28:29], v[64:65]
	v_add_f64 v[64:65], v[66:67], v[70:71]
	;; [unrolled: 1-line block ×5, first 2 shown]
	v_fma_f64 v[34:35], v[0:1], -0.5, v[53:54]
	v_add_f64 v[0:1], v[112:113], v[104:105]
	v_add_f64 v[2:3], v[2:3], v[104:105]
	;; [unrolled: 1-line block ×3, first 2 shown]
	s_delay_alu instid0(VALU_DEP_3)
	v_fma_f64 v[26:27], v[0:1], -0.5, v[53:54]
	v_add_f64 v[0:1], v[51:52], v[130:131]
	v_add_f64 v[50:51], v[90:91], -v[98:99]
	v_add_f64 v[52:53], v[114:115], -v[100:101]
	;; [unrolled: 1-line block ×3, first 2 shown]
	v_add_f64 v[10:11], v[2:3], v[6:7]
	v_add_f64 v[14:15], v[2:3], -v[6:7]
	v_add_f64 v[2:3], v[102:103], -v[94:95]
	v_fma_f64 v[6:7], v[60:61], s[14:15], v[34:35]
	v_fma_f64 v[34:35], v[60:61], s[16:17], v[34:35]
	v_add_f64 v[0:1], v[0:1], v[110:111]
	s_delay_alu instid0(VALU_DEP_3) | instskip(NEXT) | instid1(VALU_DEP_3)
	v_fma_f64 v[6:7], v[62:63], s[2:3], v[6:7]
	v_fma_f64 v[34:35], v[62:63], s[8:9], v[34:35]
	s_delay_alu instid0(VALU_DEP_3) | instskip(NEXT) | instid1(VALU_DEP_1)
	v_add_f64 v[0:1], v[0:1], v[94:95]
	v_add_f64 v[0:1], v[0:1], v[102:103]
	s_delay_alu instid0(VALU_DEP_1) | instskip(SKIP_2) | instid1(VALU_DEP_1)
	v_add_f64 v[8:9], v[0:1], v[4:5]
	v_add_f64 v[12:13], v[0:1], -v[4:5]
	v_add_f64 v[0:1], v[130:131], -v[110:111]
	v_add_f64 v[36:37], v[0:1], v[2:3]
	v_add_f64 v[0:1], v[112:113], -v[108:109]
	v_add_f64 v[2:3], v[104:105], -v[96:97]
	s_delay_alu instid0(VALU_DEP_1) | instskip(SKIP_2) | instid1(VALU_DEP_3)
	v_add_f64 v[38:39], v[0:1], v[2:3]
	v_add_f64 v[0:1], v[128:129], -v[90:91]
	v_add_f64 v[2:3], v[106:107], -v[98:99]
	v_fma_f64 v[6:7], v[38:39], s[12:13], v[6:7]
	v_fma_f64 v[38:39], v[38:39], s[12:13], v[34:35]
	s_delay_alu instid0(VALU_DEP_3) | instskip(SKIP_2) | instid1(VALU_DEP_1)
	v_add_f64 v[40:41], v[0:1], v[2:3]
	v_add_f64 v[0:1], v[114:115], -v[88:89]
	v_add_f64 v[2:3], v[100:101], -v[92:93]
	v_add_f64 v[42:43], v[0:1], v[2:3]
	v_add_f64 v[0:1], v[90:91], v[98:99]
	s_delay_alu instid0(VALU_DEP_1) | instskip(SKIP_1) | instid1(VALU_DEP_2)
	v_fma_f64 v[44:45], v[0:1], -0.5, v[118:119]
	v_add_f64 v[0:1], v[88:89], v[92:93]
	v_fma_f64 v[2:3], v[52:53], s[16:17], v[44:45]
	s_delay_alu instid0(VALU_DEP_2) | instskip(SKIP_1) | instid1(VALU_DEP_3)
	v_fma_f64 v[46:47], v[0:1], -0.5, v[116:117]
	v_fma_f64 v[44:45], v[52:53], s[14:15], v[44:45]
	v_fma_f64 v[2:3], v[54:55], s[8:9], v[2:3]
	s_delay_alu instid0(VALU_DEP_3) | instskip(SKIP_1) | instid1(VALU_DEP_4)
	v_fma_f64 v[0:1], v[48:49], s[14:15], v[46:47]
	v_fma_f64 v[46:47], v[48:49], s[16:17], v[46:47]
	;; [unrolled: 1-line block ×3, first 2 shown]
	s_delay_alu instid0(VALU_DEP_4) | instskip(NEXT) | instid1(VALU_DEP_4)
	v_fma_f64 v[2:3], v[40:41], s[12:13], v[2:3]
	v_fma_f64 v[0:1], v[50:51], s[2:3], v[0:1]
	s_delay_alu instid0(VALU_DEP_4) | instskip(NEXT) | instid1(VALU_DEP_2)
	v_fma_f64 v[46:47], v[50:51], s[8:9], v[46:47]
	v_fma_f64 v[0:1], v[42:43], s[12:13], v[0:1]
	s_delay_alu instid0(VALU_DEP_2) | instskip(NEXT) | instid1(VALU_DEP_2)
	v_fma_f64 v[42:43], v[42:43], s[12:13], v[46:47]
	v_mul_f64 v[4:5], v[0:1], s[8:9]
	v_mul_f64 v[0:1], v[0:1], s[22:23]
	s_delay_alu instid0(VALU_DEP_3) | instskip(NEXT) | instid1(VALU_DEP_3)
	v_mul_f64 v[34:35], v[42:43], s[8:9]
	v_fma_f64 v[4:5], v[2:3], s[22:23], v[4:5]
	s_delay_alu instid0(VALU_DEP_3) | instskip(SKIP_2) | instid1(VALU_DEP_3)
	v_fma_f64 v[0:1], v[2:3], s[2:3], v[0:1]
	v_fma_f64 v[2:3], v[56:57], s[16:17], v[32:33]
	;; [unrolled: 1-line block ×3, first 2 shown]
	v_add_f64 v[18:19], v[6:7], v[0:1]
	s_delay_alu instid0(VALU_DEP_3)
	v_fma_f64 v[2:3], v[58:59], s[8:9], v[2:3]
	v_add_f64 v[22:23], v[6:7], -v[0:1]
	v_add_f64 v[0:1], v[110:111], -v[130:131]
	;; [unrolled: 1-line block ×3, first 2 shown]
	v_fma_f64 v[32:33], v[58:59], s[2:3], v[32:33]
	v_fma_f64 v[2:3], v[36:37], s[12:13], v[2:3]
	s_delay_alu instid0(VALU_DEP_2) | instskip(SKIP_2) | instid1(VALU_DEP_4)
	v_fma_f64 v[36:37], v[36:37], s[12:13], v[32:33]
	v_fma_f64 v[32:33], v[40:41], s[12:13], v[44:45]
	v_mul_f64 v[40:41], v[42:43], s[20:21]
	v_add_f64 v[16:17], v[2:3], v[4:5]
	v_add_f64 v[20:21], v[2:3], -v[4:5]
	v_add_f64 v[2:3], v[94:95], -v[102:103]
	;; [unrolled: 1-line block ×3, first 2 shown]
	v_fma_f64 v[42:43], v[32:33], s[20:21], v[34:35]
	v_fma_f64 v[40:41], v[32:33], s[2:3], v[40:41]
	s_delay_alu instid0(VALU_DEP_4)
	v_add_f64 v[72:73], v[0:1], v[2:3]
	v_fma_f64 v[0:1], v[50:51], s[16:17], v[68:69]
	v_fma_f64 v[2:3], v[54:55], s[14:15], v[30:31]
	v_add_f64 v[74:75], v[4:5], v[6:7]
	v_add_f64 v[32:33], v[36:37], v[42:43]
	;; [unrolled: 1-line block ×3, first 2 shown]
	v_add_f64 v[36:37], v[36:37], -v[42:43]
	v_add_f64 v[38:39], v[38:39], -v[40:41]
	v_fma_f64 v[0:1], v[48:49], s[2:3], v[0:1]
	v_fma_f64 v[2:3], v[52:53], s[8:9], v[2:3]
	s_delay_alu instid0(VALU_DEP_2) | instskip(NEXT) | instid1(VALU_DEP_2)
	v_fma_f64 v[0:1], v[64:65], s[12:13], v[0:1]
	v_fma_f64 v[2:3], v[28:29], s[12:13], v[2:3]
	s_delay_alu instid0(VALU_DEP_2) | instskip(SKIP_1) | instid1(VALU_DEP_2)
	v_mul_f64 v[4:5], v[0:1], s[16:17]
	v_mul_f64 v[0:1], v[0:1], s[12:13]
	v_fma_f64 v[4:5], v[2:3], s[12:13], v[4:5]
	s_delay_alu instid0(VALU_DEP_2) | instskip(SKIP_3) | instid1(VALU_DEP_3)
	v_fma_f64 v[6:7], v[2:3], s[14:15], v[0:1]
	v_fma_f64 v[0:1], v[58:59], s[14:15], v[24:25]
	;; [unrolled: 1-line block ×5, first 2 shown]
	s_delay_alu instid0(VALU_DEP_3) | instskip(NEXT) | instid1(VALU_DEP_3)
	v_fma_f64 v[24:25], v[56:57], s[2:3], v[24:25]
	v_fma_f64 v[2:3], v[60:61], s[2:3], v[2:3]
	s_delay_alu instid0(VALU_DEP_3) | instskip(NEXT) | instid1(VALU_DEP_2)
	v_fma_f64 v[66:67], v[72:73], s[12:13], v[0:1]
	v_fma_f64 v[70:71], v[74:75], s[12:13], v[2:3]
	s_delay_alu instid0(VALU_DEP_2)
	v_add_f64 v[0:1], v[66:67], v[4:5]
	v_add_f64 v[4:5], v[66:67], -v[4:5]
	v_fma_f64 v[66:67], v[72:73], s[12:13], v[24:25]
	v_fma_f64 v[24:25], v[62:63], s[14:15], v[26:27]
	v_add_f64 v[2:3], v[70:71], v[6:7]
	v_add_f64 v[6:7], v[70:71], -v[6:7]
	v_fma_f64 v[26:27], v[54:55], s[16:17], v[30:31]
	s_delay_alu instid0(VALU_DEP_4) | instskip(NEXT) | instid1(VALU_DEP_2)
	v_fma_f64 v[24:25], v[60:61], s[8:9], v[24:25]
	v_fma_f64 v[26:27], v[52:53], s[2:3], v[26:27]
	s_mov_b32 s2, 0x47ae147b
	s_mov_b32 s3, 0x3f347ae1
	s_delay_alu instid0(VALU_DEP_2) | instskip(SKIP_1) | instid1(VALU_DEP_3)
	v_fma_f64 v[70:71], v[74:75], s[12:13], v[24:25]
	v_fma_f64 v[24:25], v[50:51], s[14:15], v[68:69]
	;; [unrolled: 1-line block ×3, first 2 shown]
	s_delay_alu instid0(VALU_DEP_2) | instskip(NEXT) | instid1(VALU_DEP_1)
	v_fma_f64 v[24:25], v[48:49], s[8:9], v[24:25]
	v_fma_f64 v[24:25], v[64:65], s[12:13], v[24:25]
	s_delay_alu instid0(VALU_DEP_1) | instskip(SKIP_1) | instid1(VALU_DEP_2)
	v_mul_f64 v[28:29], v[24:25], s[16:17]
	v_mul_f64 v[24:25], v[24:25], s[18:19]
	v_fma_f64 v[28:29], v[26:27], s[18:19], v[28:29]
	s_delay_alu instid0(VALU_DEP_2) | instskip(NEXT) | instid1(VALU_DEP_2)
	v_fma_f64 v[30:31], v[26:27], s[14:15], v[24:25]
	v_add_f64 v[24:25], v[66:67], v[28:29]
	s_delay_alu instid0(VALU_DEP_2)
	v_add_f64 v[26:27], v[70:71], v[30:31]
	v_add_f64 v[28:29], v[66:67], -v[28:29]
	v_add_f64 v[30:31], v[70:71], -v[30:31]
	ds_store_b128 v136, v[8:11]
	ds_store_b128 v136, v[16:19] offset:160
	ds_store_b128 v136, v[0:3] offset:320
	ds_store_b128 v136, v[24:27] offset:480
	ds_store_b128 v136, v[32:35] offset:640
	ds_store_b128 v136, v[12:15] offset:800
	ds_store_b128 v136, v[20:23] offset:960
	ds_store_b128 v136, v[4:7] offset:1120
	ds_store_b128 v136, v[28:31] offset:1280
	ds_store_b128 v136, v[36:39] offset:1440
	s_waitcnt lgkmcnt(0)
	s_barrier
	buffer_gl0_inv
	s_clause 0x1
	scratch_load_b128 v[6:9], off, off offset:696
	scratch_load_b128 v[10:13], off, off offset:728
	ds_load_b128 v[0:3], v86 offset:12800
	scratch_load_b128 v[14:17], off, off offset:744 ; 16-byte Folded Reload
	s_waitcnt vmcnt(2) lgkmcnt(0)
	v_mul_f64 v[4:5], v[8:9], v[2:3]
	s_delay_alu instid0(VALU_DEP_1) | instskip(SKIP_1) | instid1(VALU_DEP_1)
	v_fma_f64 v[24:25], v[6:7], v[0:1], v[4:5]
	v_mul_f64 v[0:1], v[8:9], v[0:1]
	v_fma_f64 v[26:27], v[6:7], v[2:3], -v[0:1]
	scratch_load_b128 v[6:9], off, off offset:712 ; 16-byte Folded Reload
	ds_load_b128 v[0:3], v86 offset:25600
	s_waitcnt vmcnt(0) lgkmcnt(0)
	v_mul_f64 v[4:5], v[8:9], v[2:3]
	s_delay_alu instid0(VALU_DEP_1) | instskip(SKIP_1) | instid1(VALU_DEP_1)
	v_fma_f64 v[4:5], v[6:7], v[0:1], v[4:5]
	v_mul_f64 v[0:1], v[8:9], v[0:1]
	v_fma_f64 v[6:7], v[6:7], v[2:3], -v[0:1]
	ds_load_b128 v[0:3], v86 offset:38400
	s_waitcnt lgkmcnt(0)
	v_mul_f64 v[8:9], v[12:13], v[2:3]
	s_delay_alu instid0(VALU_DEP_1) | instskip(SKIP_1) | instid1(VALU_DEP_2)
	v_fma_f64 v[8:9], v[10:11], v[0:1], v[8:9]
	v_mul_f64 v[0:1], v[12:13], v[0:1]
	v_add_f64 v[82:83], v[24:25], -v[8:9]
	s_delay_alu instid0(VALU_DEP_2) | instskip(SKIP_4) | instid1(VALU_DEP_2)
	v_fma_f64 v[10:11], v[10:11], v[2:3], -v[0:1]
	ds_load_b128 v[0:3], v86 offset:15360
	s_waitcnt lgkmcnt(0)
	v_mul_f64 v[12:13], v[16:17], v[2:3]
	v_add_f64 v[80:81], v[26:27], -v[10:11]
	v_fma_f64 v[28:29], v[14:15], v[0:1], v[12:13]
	v_mul_f64 v[0:1], v[16:17], v[0:1]
	s_delay_alu instid0(VALU_DEP_1) | instskip(SKIP_3) | instid1(VALU_DEP_1)
	v_fma_f64 v[30:31], v[14:15], v[2:3], -v[0:1]
	ds_load_b128 v[0:3], v86 offset:28160
	s_waitcnt lgkmcnt(0)
	v_mul_f64 v[12:13], v[210:211], v[2:3]
	v_fma_f64 v[32:33], v[208:209], v[0:1], v[12:13]
	v_mul_f64 v[0:1], v[210:211], v[0:1]
	s_delay_alu instid0(VALU_DEP_1) | instskip(SKIP_3) | instid1(VALU_DEP_1)
	v_fma_f64 v[34:35], v[208:209], v[2:3], -v[0:1]
	ds_load_b128 v[0:3], v86 offset:40960
	s_waitcnt lgkmcnt(0)
	v_mul_f64 v[12:13], v[214:215], v[2:3]
	;; [unrolled: 7-line block ×11, first 2 shown]
	v_fma_f64 v[72:73], v[252:253], v[0:1], v[12:13]
	v_mul_f64 v[0:1], v[254:255], v[0:1]
	s_delay_alu instid0(VALU_DEP_1)
	v_fma_f64 v[74:75], v[252:253], v[2:3], -v[0:1]
	ds_load_b128 v[0:3], v86
	ds_load_b128 v[8:11], v86 offset:2560
	ds_load_b128 v[12:15], v86 offset:5120
	;; [unrolled: 1-line block ×4, first 2 shown]
	s_waitcnt lgkmcnt(0)
	s_barrier
	buffer_gl0_inv
	v_add_f64 v[4:5], v[0:1], -v[4:5]
	v_add_f64 v[6:7], v[2:3], -v[6:7]
	s_delay_alu instid0(VALU_DEP_2) | instskip(NEXT) | instid1(VALU_DEP_2)
	v_fma_f64 v[76:77], v[0:1], 2.0, -v[4:5]
	v_fma_f64 v[78:79], v[2:3], 2.0, -v[6:7]
	v_add_f64 v[0:1], v[4:5], v[80:81]
	v_add_f64 v[2:3], v[6:7], -v[82:83]
	s_delay_alu instid0(VALU_DEP_2) | instskip(NEXT) | instid1(VALU_DEP_2)
	v_fma_f64 v[4:5], v[4:5], 2.0, -v[0:1]
	v_fma_f64 v[6:7], v[6:7], 2.0, -v[2:3]
	ds_store_b128 v124, v[0:3] offset:4800
	v_fma_f64 v[0:1], v[24:25], 2.0, -v[82:83]
	v_fma_f64 v[2:3], v[26:27], 2.0, -v[80:81]
	s_delay_alu instid0(VALU_DEP_2) | instskip(NEXT) | instid1(VALU_DEP_2)
	v_add_f64 v[0:1], v[76:77], -v[0:1]
	v_add_f64 v[2:3], v[78:79], -v[2:3]
	s_delay_alu instid0(VALU_DEP_2) | instskip(NEXT) | instid1(VALU_DEP_2)
	v_fma_f64 v[24:25], v[76:77], 2.0, -v[0:1]
	v_fma_f64 v[26:27], v[78:79], 2.0, -v[2:3]
	ds_store_b128 v124, v[0:3] offset:3200
	ds_store_b128 v124, v[4:7] offset:1600
	ds_store_b128 v124, v[24:27]
	v_add_f64 v[24:25], v[8:9], -v[32:33]
	v_add_f64 v[26:27], v[10:11], -v[34:35]
	s_delay_alu instid0(VALU_DEP_2) | instskip(SKIP_1) | instid1(VALU_DEP_3)
	v_fma_f64 v[4:5], v[8:9], 2.0, -v[24:25]
	v_add_f64 v[8:9], v[28:29], -v[36:37]
	v_fma_f64 v[6:7], v[10:11], 2.0, -v[26:27]
	v_add_f64 v[10:11], v[30:31], -v[38:39]
	s_delay_alu instid0(VALU_DEP_3) | instskip(SKIP_3) | instid1(VALU_DEP_2)
	v_fma_f64 v[0:1], v[28:29], 2.0, -v[8:9]
	scratch_load_b32 v28, off, off offset:772 ; 4-byte Folded Reload
	v_fma_f64 v[2:3], v[30:31], 2.0, -v[10:11]
	v_add_f64 v[0:1], v[4:5], -v[0:1]
	v_add_f64 v[2:3], v[6:7], -v[2:3]
	s_delay_alu instid0(VALU_DEP_2) | instskip(NEXT) | instid1(VALU_DEP_2)
	v_fma_f64 v[4:5], v[4:5], 2.0, -v[0:1]
	v_fma_f64 v[6:7], v[6:7], 2.0, -v[2:3]
	s_waitcnt vmcnt(0)
	ds_store_b128 v28, v[4:7]
	v_add_f64 v[4:5], v[24:25], v[10:11]
	v_add_f64 v[6:7], v[26:27], -v[8:9]
	s_delay_alu instid0(VALU_DEP_2) | instskip(NEXT) | instid1(VALU_DEP_2)
	v_fma_f64 v[8:9], v[24:25], 2.0, -v[4:5]
	v_fma_f64 v[10:11], v[26:27], 2.0, -v[6:7]
	ds_store_b128 v28, v[8:11] offset:1600
	ds_store_b128 v28, v[0:3] offset:3200
	;; [unrolled: 1-line block ×3, first 2 shown]
	scratch_load_b32 v24, off, off offset:764 ; 4-byte Folded Reload
	v_add_f64 v[8:9], v[12:13], -v[44:45]
	v_add_f64 v[10:11], v[14:15], -v[46:47]
	s_delay_alu instid0(VALU_DEP_2) | instskip(NEXT) | instid1(VALU_DEP_2)
	v_fma_f64 v[4:5], v[12:13], 2.0, -v[8:9]
	v_fma_f64 v[6:7], v[14:15], 2.0, -v[10:11]
	v_add_f64 v[12:13], v[40:41], -v[48:49]
	v_add_f64 v[14:15], v[42:43], -v[50:51]
	s_delay_alu instid0(VALU_DEP_2) | instskip(NEXT) | instid1(VALU_DEP_2)
	v_fma_f64 v[0:1], v[40:41], 2.0, -v[12:13]
	v_fma_f64 v[2:3], v[42:43], 2.0, -v[14:15]
	s_delay_alu instid0(VALU_DEP_2) | instskip(NEXT) | instid1(VALU_DEP_2)
	v_add_f64 v[0:1], v[4:5], -v[0:1]
	v_add_f64 v[2:3], v[6:7], -v[2:3]
	s_delay_alu instid0(VALU_DEP_2) | instskip(NEXT) | instid1(VALU_DEP_2)
	v_fma_f64 v[4:5], v[4:5], 2.0, -v[0:1]
	v_fma_f64 v[6:7], v[6:7], 2.0, -v[2:3]
	s_waitcnt vmcnt(0)
	ds_store_b128 v24, v[4:7]
	v_add_f64 v[4:5], v[8:9], v[14:15]
	v_add_f64 v[6:7], v[10:11], -v[12:13]
	v_add_f64 v[12:13], v[52:53], -v[60:61]
	;; [unrolled: 1-line block ×3, first 2 shown]
	s_delay_alu instid0(VALU_DEP_4) | instskip(NEXT) | instid1(VALU_DEP_4)
	v_fma_f64 v[8:9], v[8:9], 2.0, -v[4:5]
	v_fma_f64 v[10:11], v[10:11], 2.0, -v[6:7]
	ds_store_b128 v24, v[8:11] offset:1600
	ds_store_b128 v24, v[0:3] offset:3200
	;; [unrolled: 1-line block ×3, first 2 shown]
	scratch_load_b32 v124, off, off offset:768 ; 4-byte Folded Reload
	v_add_f64 v[8:9], v[16:17], -v[56:57]
	v_add_f64 v[10:11], v[18:19], -v[58:59]
	v_fma_f64 v[0:1], v[52:53], 2.0, -v[12:13]
	v_fma_f64 v[2:3], v[54:55], 2.0, -v[14:15]
	s_delay_alu instid0(VALU_DEP_4) | instskip(NEXT) | instid1(VALU_DEP_4)
	v_fma_f64 v[4:5], v[16:17], 2.0, -v[8:9]
	v_fma_f64 v[6:7], v[18:19], 2.0, -v[10:11]
	s_delay_alu instid0(VALU_DEP_2) | instskip(NEXT) | instid1(VALU_DEP_2)
	v_add_f64 v[0:1], v[4:5], -v[0:1]
	v_add_f64 v[2:3], v[6:7], -v[2:3]
	s_delay_alu instid0(VALU_DEP_2) | instskip(NEXT) | instid1(VALU_DEP_2)
	v_fma_f64 v[4:5], v[4:5], 2.0, -v[0:1]
	v_fma_f64 v[6:7], v[6:7], 2.0, -v[2:3]
	s_waitcnt vmcnt(0)
	ds_store_b128 v124, v[4:7]
	v_add_f64 v[4:5], v[8:9], v[14:15]
	v_add_f64 v[6:7], v[10:11], -v[12:13]
	v_add_f64 v[12:13], v[64:65], -v[72:73]
	v_add_f64 v[14:15], v[66:67], -v[74:75]
	s_delay_alu instid0(VALU_DEP_4) | instskip(NEXT) | instid1(VALU_DEP_4)
	v_fma_f64 v[8:9], v[8:9], 2.0, -v[4:5]
	v_fma_f64 v[10:11], v[10:11], 2.0, -v[6:7]
	ds_store_b128 v124, v[8:11] offset:1600
	ds_store_b128 v124, v[0:3] offset:3200
	;; [unrolled: 1-line block ×3, first 2 shown]
	v_add_f64 v[8:9], v[20:21], -v[68:69]
	v_add_f64 v[10:11], v[22:23], -v[70:71]
	v_fma_f64 v[0:1], v[64:65], 2.0, -v[12:13]
	v_fma_f64 v[2:3], v[66:67], 2.0, -v[14:15]
	s_delay_alu instid0(VALU_DEP_4) | instskip(NEXT) | instid1(VALU_DEP_4)
	v_fma_f64 v[4:5], v[20:21], 2.0, -v[8:9]
	v_fma_f64 v[6:7], v[22:23], 2.0, -v[10:11]
	s_delay_alu instid0(VALU_DEP_2) | instskip(NEXT) | instid1(VALU_DEP_2)
	v_add_f64 v[0:1], v[4:5], -v[0:1]
	v_add_f64 v[2:3], v[6:7], -v[2:3]
	s_delay_alu instid0(VALU_DEP_2) | instskip(NEXT) | instid1(VALU_DEP_2)
	v_fma_f64 v[4:5], v[4:5], 2.0, -v[0:1]
	v_fma_f64 v[6:7], v[6:7], 2.0, -v[2:3]
	ds_store_b128 v137, v[4:7]
	v_add_f64 v[4:5], v[8:9], v[14:15]
	v_add_f64 v[6:7], v[10:11], -v[12:13]
	s_delay_alu instid0(VALU_DEP_2) | instskip(NEXT) | instid1(VALU_DEP_2)
	v_fma_f64 v[8:9], v[8:9], 2.0, -v[4:5]
	v_fma_f64 v[10:11], v[10:11], 2.0, -v[6:7]
	ds_store_b128 v137, v[8:11] offset:1600
	ds_store_b128 v137, v[0:3] offset:3200
	;; [unrolled: 1-line block ×3, first 2 shown]
	s_waitcnt lgkmcnt(0)
	s_barrier
	buffer_gl0_inv
	ds_load_b128 v[0:3], v86 offset:12800
	ds_load_b128 v[40:43], v86
	s_waitcnt lgkmcnt(1)
	v_mul_f64 v[4:5], v[246:247], v[2:3]
	s_delay_alu instid0(VALU_DEP_1) | instskip(SKIP_1) | instid1(VALU_DEP_1)
	v_fma_f64 v[4:5], v[244:245], v[0:1], v[4:5]
	v_mul_f64 v[0:1], v[246:247], v[0:1]
	v_fma_f64 v[6:7], v[244:245], v[2:3], -v[0:1]
	ds_load_b128 v[0:3], v86 offset:25600
	s_waitcnt lgkmcnt(0)
	v_mul_f64 v[8:9], v[206:207], v[2:3]
	s_delay_alu instid0(VALU_DEP_1) | instskip(SKIP_1) | instid1(VALU_DEP_1)
	v_fma_f64 v[44:45], v[204:205], v[0:1], v[8:9]
	v_mul_f64 v[0:1], v[206:207], v[0:1]
	v_fma_f64 v[46:47], v[204:205], v[2:3], -v[0:1]
	ds_load_b128 v[0:3], v86 offset:38400
	s_waitcnt lgkmcnt(0)
	v_mul_f64 v[8:9], v[202:203], v[2:3]
	v_add_f64 v[50:51], v[42:43], -v[46:47]
	s_delay_alu instid0(VALU_DEP_2)
	v_fma_f64 v[48:49], v[200:201], v[0:1], v[8:9]
	v_mul_f64 v[0:1], v[202:203], v[0:1]
	ds_load_b128 v[8:11], v86 offset:15360
	v_fma_f64 v[62:63], v[42:43], 2.0, -v[50:51]
	v_add_f64 v[82:83], v[4:5], -v[48:49]
	v_fma_f64 v[52:53], v[200:201], v[2:3], -v[0:1]
	s_waitcnt lgkmcnt(0)
	v_mul_f64 v[0:1], v[198:199], v[10:11]
	s_delay_alu instid0(VALU_DEP_3) | instskip(NEXT) | instid1(VALU_DEP_3)
	v_add_f64 v[70:71], v[50:51], -v[82:83]
	v_add_f64 v[80:81], v[6:7], -v[52:53]
	s_delay_alu instid0(VALU_DEP_3) | instskip(SKIP_4) | instid1(VALU_DEP_4)
	v_fma_f64 v[1:2], v[196:197], v[8:9], v[0:1]
	v_mul_f64 v[8:9], v[198:199], v[8:9]
	v_fma_f64 v[3:4], v[4:5], 2.0, -v[82:83]
	v_fma_f64 v[42:43], v[50:51], 2.0, -v[70:71]
	v_fma_f64 v[5:6], v[6:7], 2.0, -v[80:81]
	v_fma_f64 v[72:73], v[196:197], v[10:11], -v[8:9]
	ds_load_b128 v[8:11], v86 offset:28160
	s_waitcnt lgkmcnt(0)
	v_mul_f64 v[12:13], v[190:191], v[10:11]
	v_add_f64 v[5:6], v[62:63], -v[5:6]
	s_delay_alu instid0(VALU_DEP_2) | instskip(SKIP_1) | instid1(VALU_DEP_1)
	v_fma_f64 v[76:77], v[188:189], v[8:9], v[12:13]
	v_mul_f64 v[8:9], v[190:191], v[8:9]
	v_fma_f64 v[78:79], v[188:189], v[10:11], -v[8:9]
	ds_load_b128 v[8:11], v86 offset:40960
	s_waitcnt lgkmcnt(0)
	v_mul_f64 v[12:13], v[194:195], v[10:11]
	s_delay_alu instid0(VALU_DEP_1) | instskip(SKIP_1) | instid1(VALU_DEP_2)
	v_fma_f64 v[74:75], v[192:193], v[8:9], v[12:13]
	v_mul_f64 v[8:9], v[194:195], v[8:9]
	v_add_f64 v[74:75], v[1:2], -v[74:75]
	s_delay_alu instid0(VALU_DEP_2) | instskip(SKIP_4) | instid1(VALU_DEP_2)
	v_fma_f64 v[84:85], v[192:193], v[10:11], -v[8:9]
	ds_load_b128 v[8:11], v86 offset:17920
	s_waitcnt lgkmcnt(0)
	v_mul_f64 v[12:13], v[186:187], v[10:11]
	v_fma_f64 v[0:1], v[1:2], 2.0, -v[74:75]
	v_fma_f64 v[12:13], v[184:185], v[8:9], v[12:13]
	v_mul_f64 v[8:9], v[186:187], v[8:9]
	s_delay_alu instid0(VALU_DEP_1) | instskip(SKIP_3) | instid1(VALU_DEP_1)
	v_fma_f64 v[14:15], v[184:185], v[10:11], -v[8:9]
	ds_load_b128 v[8:11], v86 offset:30720
	s_waitcnt lgkmcnt(0)
	v_mul_f64 v[16:17], v[182:183], v[10:11]
	v_fma_f64 v[91:92], v[180:181], v[8:9], v[16:17]
	v_mul_f64 v[8:9], v[182:183], v[8:9]
	s_delay_alu instid0(VALU_DEP_1) | instskip(SKIP_3) | instid1(VALU_DEP_1)
	v_fma_f64 v[87:88], v[180:181], v[10:11], -v[8:9]
	ds_load_b128 v[8:11], v86 offset:43520
	s_waitcnt lgkmcnt(0)
	v_mul_f64 v[16:17], v[178:179], v[10:11]
	v_fma_f64 v[89:90], v[176:177], v[8:9], v[16:17]
	v_mul_f64 v[8:9], v[178:179], v[8:9]
	s_delay_alu instid0(VALU_DEP_1) | instskip(SKIP_4) | instid1(VALU_DEP_2)
	v_fma_f64 v[34:35], v[176:177], v[10:11], -v[8:9]
	ds_load_b128 v[8:11], v86 offset:20480
	s_waitcnt lgkmcnt(0)
	v_mul_f64 v[16:17], v[174:175], v[10:11]
	v_add_f64 v[34:35], v[14:15], -v[34:35]
	v_fma_f64 v[16:17], v[172:173], v[8:9], v[16:17]
	v_mul_f64 v[8:9], v[174:175], v[8:9]
	s_delay_alu instid0(VALU_DEP_1) | instskip(SKIP_3) | instid1(VALU_DEP_1)
	v_fma_f64 v[32:33], v[172:173], v[10:11], -v[8:9]
	ds_load_b128 v[8:11], v86 offset:33280
	s_waitcnt lgkmcnt(0)
	v_mul_f64 v[18:19], v[170:171], v[10:11]
	v_fma_f64 v[22:23], v[168:169], v[8:9], v[18:19]
	v_mul_f64 v[8:9], v[170:171], v[8:9]
	s_delay_alu instid0(VALU_DEP_1) | instskip(SKIP_3) | instid1(VALU_DEP_1)
	v_fma_f64 v[24:25], v[168:169], v[10:11], -v[8:9]
	ds_load_b128 v[8:11], v86 offset:46080
	s_waitcnt lgkmcnt(0)
	v_mul_f64 v[18:19], v[150:151], v[10:11]
	;; [unrolled: 7-line block ×5, first 2 shown]
	v_fma_f64 v[38:39], v[120:121], v[8:9], v[38:39]
	v_mul_f64 v[8:9], v[122:123], v[8:9]
	s_delay_alu instid0(VALU_DEP_1)
	v_fma_f64 v[8:9], v[120:121], v[10:11], -v[8:9]
	v_add_f64 v[10:11], v[40:41], -v[44:45]
	ds_load_b128 v[44:47], v86 offset:2560
	ds_load_b128 v[48:51], v86 offset:5120
	;; [unrolled: 1-line block ×4, first 2 shown]
	s_waitcnt lgkmcnt(0)
	s_barrier
	buffer_gl0_inv
	v_add_f64 v[66:67], v[46:47], -v[78:79]
	v_add_f64 v[68:69], v[10:11], v[80:81]
	v_fma_f64 v[60:61], v[40:41], 2.0, -v[10:11]
	s_delay_alu instid0(VALU_DEP_2)
	v_fma_f64 v[40:41], v[10:11], 2.0, -v[68:69]
	v_add_f64 v[10:11], v[44:45], -v[76:77]
	v_add_f64 v[76:77], v[72:73], -v[84:85]
	ds_store_b128 v86, v[68:71] offset:19200
	v_fma_f64 v[70:71], v[46:47], 2.0, -v[66:67]
	v_add_f64 v[46:47], v[66:67], -v[74:75]
	v_add_f64 v[3:4], v[60:61], -v[3:4]
	v_fma_f64 v[68:69], v[44:45], 2.0, -v[10:11]
	v_add_f64 v[44:45], v[10:11], v[76:77]
	s_delay_alu instid0(VALU_DEP_4) | instskip(NEXT) | instid1(VALU_DEP_3)
	v_fma_f64 v[66:67], v[66:67], 2.0, -v[46:47]
	v_add_f64 v[0:1], v[68:69], -v[0:1]
	s_delay_alu instid0(VALU_DEP_3)
	v_fma_f64 v[64:65], v[10:11], 2.0, -v[44:45]
	ds_store_b128 v86, v[44:47] offset:21760
	ds_store_b128 v86, v[40:43] offset:6400
	;; [unrolled: 1-line block ×3, first 2 shown]
	v_fma_f64 v[40:41], v[60:61], 2.0, -v[3:4]
	ds_store_b128 v86, v[3:6] offset:12800
	v_fma_f64 v[2:3], v[72:73], 2.0, -v[76:77]
	v_fma_f64 v[42:43], v[62:63], 2.0, -v[5:6]
	;; [unrolled: 1-line block ×3, first 2 shown]
	v_add_f64 v[10:11], v[48:49], -v[91:92]
	s_delay_alu instid0(VALU_DEP_4) | instskip(NEXT) | instid1(VALU_DEP_1)
	v_add_f64 v[2:3], v[70:71], -v[2:3]
	v_fma_f64 v[6:7], v[70:71], 2.0, -v[2:3]
	ds_store_b128 v86, v[0:3] offset:15360
	ds_store_b128 v86, v[40:43]
	ds_store_b128 v86, v[4:7] offset:2560
	v_add_f64 v[40:41], v[50:51], -v[87:88]
	v_add_f64 v[42:43], v[12:13], -v[89:90]
	v_fma_f64 v[4:5], v[48:49], 2.0, -v[10:11]
	v_fma_f64 v[2:3], v[14:15], 2.0, -v[34:35]
	v_add_f64 v[14:15], v[54:55], -v[24:25]
	v_add_f64 v[24:25], v[32:33], -v[28:29]
	v_fma_f64 v[6:7], v[50:51], 2.0, -v[40:41]
	v_fma_f64 v[0:1], v[12:13], 2.0, -v[42:43]
	s_delay_alu instid0(VALU_DEP_2) | instskip(NEXT) | instid1(VALU_DEP_2)
	v_add_f64 v[2:3], v[6:7], -v[2:3]
	v_add_f64 v[0:1], v[4:5], -v[0:1]
	s_delay_alu instid0(VALU_DEP_2) | instskip(NEXT) | instid1(VALU_DEP_2)
	v_fma_f64 v[6:7], v[6:7], 2.0, -v[2:3]
	v_fma_f64 v[4:5], v[4:5], 2.0, -v[0:1]
	ds_store_b128 v125, v[4:7]
	v_add_f64 v[4:5], v[10:11], v[34:35]
	v_add_f64 v[6:7], v[40:41], -v[42:43]
	s_delay_alu instid0(VALU_DEP_2) | instskip(NEXT) | instid1(VALU_DEP_2)
	v_fma_f64 v[10:11], v[10:11], 2.0, -v[4:5]
	v_fma_f64 v[12:13], v[40:41], 2.0, -v[6:7]
	ds_store_b128 v125, v[10:13] offset:6400
	ds_store_b128 v125, v[0:3] offset:12800
	;; [unrolled: 1-line block ×3, first 2 shown]
	v_add_f64 v[12:13], v[52:53], -v[22:23]
	v_add_f64 v[22:23], v[16:17], -v[26:27]
	v_fma_f64 v[6:7], v[54:55], 2.0, -v[14:15]
	v_fma_f64 v[2:3], v[32:33], 2.0, -v[24:25]
	v_add_f64 v[26:27], v[58:59], -v[36:37]
	v_add_f64 v[32:33], v[20:21], -v[8:9]
	v_fma_f64 v[4:5], v[52:53], 2.0, -v[12:13]
	v_fma_f64 v[0:1], v[16:17], 2.0, -v[22:23]
	v_add_f64 v[16:17], v[56:57], -v[30:31]
	v_add_f64 v[2:3], v[6:7], -v[2:3]
	;; [unrolled: 1-line block ×3, first 2 shown]
	v_fma_f64 v[28:29], v[58:59], 2.0, -v[26:27]
	v_add_f64 v[0:1], v[4:5], -v[0:1]
	v_fma_f64 v[10:11], v[56:57], 2.0, -v[16:17]
	v_fma_f64 v[6:7], v[6:7], 2.0, -v[2:3]
	s_delay_alu instid0(VALU_DEP_3) | instskip(SKIP_3) | instid1(VALU_DEP_2)
	v_fma_f64 v[4:5], v[4:5], 2.0, -v[0:1]
	ds_store_b128 v86, v[4:7] offset:26880
	v_fma_f64 v[4:5], v[18:19], 2.0, -v[30:31]
	v_fma_f64 v[6:7], v[20:21], 2.0, -v[32:33]
	v_add_f64 v[4:5], v[10:11], -v[4:5]
	s_delay_alu instid0(VALU_DEP_2) | instskip(NEXT) | instid1(VALU_DEP_2)
	v_add_f64 v[6:7], v[28:29], -v[6:7]
	v_fma_f64 v[8:9], v[10:11], 2.0, -v[4:5]
	s_delay_alu instid0(VALU_DEP_2) | instskip(SKIP_3) | instid1(VALU_DEP_2)
	v_fma_f64 v[10:11], v[28:29], 2.0, -v[6:7]
	ds_store_b128 v86, v[8:11] offset:29440
	v_add_f64 v[8:9], v[12:13], v[24:25]
	v_add_f64 v[10:11], v[14:15], -v[22:23]
	v_fma_f64 v[12:13], v[12:13], 2.0, -v[8:9]
	s_delay_alu instid0(VALU_DEP_2) | instskip(SKIP_3) | instid1(VALU_DEP_2)
	v_fma_f64 v[14:15], v[14:15], 2.0, -v[10:11]
	ds_store_b128 v86, v[12:15] offset:33280
	v_add_f64 v[12:13], v[16:17], v[32:33]
	v_add_f64 v[14:15], v[26:27], -v[30:31]
	v_fma_f64 v[16:17], v[16:17], 2.0, -v[12:13]
	s_delay_alu instid0(VALU_DEP_2)
	v_fma_f64 v[18:19], v[26:27], 2.0, -v[14:15]
	ds_store_b128 v86, v[16:19] offset:35840
	ds_store_b128 v86, v[0:3] offset:39680
	ds_store_b128 v86, v[4:7] offset:42240
	ds_store_b128 v86, v[8:11] offset:46080
	ds_store_b128 v86, v[12:15] offset:48640
	s_waitcnt lgkmcnt(0)
	s_barrier
	buffer_gl0_inv
	s_clause 0x1
	scratch_load_b128 v[6:9], off, off offset:680
	scratch_load_b128 v[14:17], off, off offset:616
	ds_load_b128 v[0:3], v86 offset:25600
	ds_load_b128 v[64:67], v86 offset:23040
	ds_load_b128 v[24:27], v86 offset:10240
	ds_load_b128 v[72:75], v86
	ds_load_b128 v[32:35], v86 offset:12800
	ds_load_b128 v[40:43], v86 offset:15360
	;; [unrolled: 1-line block ×4, first 2 shown]
	s_waitcnt vmcnt(1) lgkmcnt(7)
	v_mul_f64 v[4:5], v[8:9], v[2:3]
	s_delay_alu instid0(VALU_DEP_1) | instskip(SKIP_2) | instid1(VALU_DEP_2)
	v_fma_f64 v[76:77], v[6:7], v[0:1], v[4:5]
	v_mul_f64 v[0:1], v[8:9], v[0:1]
	s_waitcnt lgkmcnt(4)
	v_add_f64 v[76:77], v[72:73], -v[76:77]
	s_delay_alu instid0(VALU_DEP_2) | instskip(SKIP_4) | instid1(VALU_DEP_1)
	v_fma_f64 v[78:79], v[6:7], v[2:3], -v[0:1]
	scratch_load_b128 v[6:9], off, off offset:600 ; 16-byte Folded Reload
	ds_load_b128 v[0:3], v86 offset:28160
	v_fma_f64 v[72:73], v[72:73], 2.0, -v[76:77]
	v_add_f64 v[78:79], v[74:75], -v[78:79]
	v_fma_f64 v[74:75], v[74:75], 2.0, -v[78:79]
	s_waitcnt vmcnt(0) lgkmcnt(0)
	v_mul_f64 v[4:5], v[8:9], v[2:3]
	s_delay_alu instid0(VALU_DEP_1) | instskip(SKIP_1) | instid1(VALU_DEP_1)
	v_fma_f64 v[4:5], v[6:7], v[0:1], v[4:5]
	v_mul_f64 v[0:1], v[8:9], v[0:1]
	v_fma_f64 v[6:7], v[6:7], v[2:3], -v[0:1]
	ds_load_b128 v[0:3], v86 offset:30720
	s_waitcnt lgkmcnt(0)
	v_mul_f64 v[8:9], v[16:17], v[2:3]
	s_delay_alu instid0(VALU_DEP_1)
	v_fma_f64 v[12:13], v[14:15], v[0:1], v[8:9]
	v_mul_f64 v[0:1], v[16:17], v[0:1]
	scratch_load_b128 v[16:19], off, off offset:632 ; 16-byte Folded Reload
	v_fma_f64 v[14:15], v[14:15], v[2:3], -v[0:1]
	ds_load_b128 v[0:3], v86 offset:33280
	s_waitcnt vmcnt(0) lgkmcnt(0)
	v_mul_f64 v[8:9], v[18:19], v[2:3]
	s_delay_alu instid0(VALU_DEP_1) | instskip(SKIP_1) | instid1(VALU_DEP_1)
	v_fma_f64 v[20:21], v[16:17], v[0:1], v[8:9]
	v_mul_f64 v[0:1], v[18:19], v[0:1]
	v_fma_f64 v[22:23], v[16:17], v[2:3], -v[0:1]
	scratch_load_b128 v[16:19], off, off offset:648 ; 16-byte Folded Reload
	ds_load_b128 v[0:3], v86 offset:35840
	s_waitcnt vmcnt(0) lgkmcnt(0)
	v_mul_f64 v[8:9], v[18:19], v[2:3]
	s_delay_alu instid0(VALU_DEP_1) | instskip(SKIP_1) | instid1(VALU_DEP_2)
	v_fma_f64 v[28:29], v[16:17], v[0:1], v[8:9]
	v_mul_f64 v[0:1], v[18:19], v[0:1]
	v_add_f64 v[28:29], v[24:25], -v[28:29]
	s_delay_alu instid0(VALU_DEP_2) | instskip(SKIP_4) | instid1(VALU_DEP_1)
	v_fma_f64 v[30:31], v[16:17], v[2:3], -v[0:1]
	scratch_load_b128 v[16:19], off, off offset:664 ; 16-byte Folded Reload
	ds_load_b128 v[0:3], v86 offset:38400
	v_fma_f64 v[24:25], v[24:25], 2.0, -v[28:29]
	v_add_f64 v[30:31], v[26:27], -v[30:31]
	v_fma_f64 v[26:27], v[26:27], 2.0, -v[30:31]
	s_waitcnt vmcnt(0) lgkmcnt(0)
	v_mul_f64 v[8:9], v[18:19], v[2:3]
	s_delay_alu instid0(VALU_DEP_1) | instskip(SKIP_1) | instid1(VALU_DEP_2)
	v_fma_f64 v[36:37], v[16:17], v[0:1], v[8:9]
	v_mul_f64 v[0:1], v[18:19], v[0:1]
	v_add_f64 v[36:37], v[32:33], -v[36:37]
	s_delay_alu instid0(VALU_DEP_2)
	v_fma_f64 v[38:39], v[16:17], v[2:3], -v[0:1]
	ds_load_b128 v[0:3], v86 offset:40960
	ds_load_b128 v[16:19], v86 offset:7680
	s_waitcnt lgkmcnt(1)
	v_mul_f64 v[8:9], v[166:167], v[2:3]
	s_waitcnt lgkmcnt(0)
	v_add_f64 v[20:21], v[16:17], -v[20:21]
	v_add_f64 v[22:23], v[18:19], -v[22:23]
	v_fma_f64 v[32:33], v[32:33], 2.0, -v[36:37]
	v_add_f64 v[38:39], v[34:35], -v[38:39]
	v_fma_f64 v[44:45], v[164:165], v[0:1], v[8:9]
	v_mul_f64 v[0:1], v[166:167], v[0:1]
	v_fma_f64 v[16:17], v[16:17], 2.0, -v[20:21]
	v_fma_f64 v[18:19], v[18:19], 2.0, -v[22:23]
	;; [unrolled: 1-line block ×3, first 2 shown]
	v_add_f64 v[44:45], v[40:41], -v[44:45]
	v_fma_f64 v[46:47], v[164:165], v[2:3], -v[0:1]
	ds_load_b128 v[0:3], v86 offset:43520
	s_waitcnt lgkmcnt(0)
	v_mul_f64 v[8:9], v[162:163], v[2:3]
	v_fma_f64 v[40:41], v[40:41], 2.0, -v[44:45]
	v_add_f64 v[46:47], v[42:43], -v[46:47]
	s_delay_alu instid0(VALU_DEP_3) | instskip(SKIP_1) | instid1(VALU_DEP_3)
	v_fma_f64 v[52:53], v[160:161], v[0:1], v[8:9]
	v_mul_f64 v[0:1], v[162:163], v[0:1]
	v_fma_f64 v[42:43], v[42:43], 2.0, -v[46:47]
	s_delay_alu instid0(VALU_DEP_3) | instskip(NEXT) | instid1(VALU_DEP_3)
	v_add_f64 v[52:53], v[48:49], -v[52:53]
	v_fma_f64 v[54:55], v[160:161], v[2:3], -v[0:1]
	ds_load_b128 v[0:3], v86 offset:46080
	s_waitcnt lgkmcnt(0)
	v_mul_f64 v[8:9], v[158:159], v[2:3]
	v_fma_f64 v[48:49], v[48:49], 2.0, -v[52:53]
	v_add_f64 v[54:55], v[50:51], -v[54:55]
	s_delay_alu instid0(VALU_DEP_3) | instskip(SKIP_1) | instid1(VALU_DEP_3)
	v_fma_f64 v[60:61], v[156:157], v[0:1], v[8:9]
	v_mul_f64 v[0:1], v[158:159], v[0:1]
	v_fma_f64 v[50:51], v[50:51], 2.0, -v[54:55]
	s_delay_alu instid0(VALU_DEP_3) | instskip(NEXT) | instid1(VALU_DEP_3)
	v_add_f64 v[60:61], v[56:57], -v[60:61]
	v_fma_f64 v[62:63], v[156:157], v[2:3], -v[0:1]
	ds_load_b128 v[0:3], v86 offset:48640
	s_waitcnt lgkmcnt(0)
	v_mul_f64 v[8:9], v[154:155], v[2:3]
	v_fma_f64 v[56:57], v[56:57], 2.0, -v[60:61]
	v_add_f64 v[62:63], v[58:59], -v[62:63]
	s_delay_alu instid0(VALU_DEP_3)
	v_fma_f64 v[68:69], v[152:153], v[0:1], v[8:9]
	v_mul_f64 v[0:1], v[154:155], v[0:1]
	ds_load_b128 v[8:11], v86 offset:5120
	v_fma_f64 v[58:59], v[58:59], 2.0, -v[62:63]
	s_waitcnt lgkmcnt(0)
	v_add_f64 v[12:13], v[8:9], -v[12:13]
	v_add_f64 v[14:15], v[10:11], -v[14:15]
	;; [unrolled: 1-line block ×3, first 2 shown]
	v_fma_f64 v[70:71], v[152:153], v[2:3], -v[0:1]
	ds_load_b128 v[0:3], v86 offset:2560
	s_waitcnt lgkmcnt(0)
	v_add_f64 v[4:5], v[0:1], -v[4:5]
	v_add_f64 v[6:7], v[2:3], -v[6:7]
	v_fma_f64 v[8:9], v[8:9], 2.0, -v[12:13]
	v_fma_f64 v[10:11], v[10:11], 2.0, -v[14:15]
	;; [unrolled: 1-line block ×3, first 2 shown]
	v_add_f64 v[70:71], v[66:67], -v[70:71]
	v_fma_f64 v[0:1], v[0:1], 2.0, -v[4:5]
	v_fma_f64 v[2:3], v[2:3], 2.0, -v[6:7]
	s_delay_alu instid0(VALU_DEP_3)
	v_fma_f64 v[66:67], v[66:67], 2.0, -v[70:71]
	ds_store_b128 v86, v[4:7] offset:28160
	ds_store_b128 v86, v[12:15] offset:30720
	ds_store_b128 v86, v[20:23] offset:33280
	ds_store_b128 v86, v[28:31] offset:35840
	ds_store_b128 v86, v[36:39] offset:38400
	ds_store_b128 v86, v[44:47] offset:40960
	ds_store_b128 v86, v[52:55] offset:43520
	ds_store_b128 v86, v[60:63] offset:46080
	ds_store_b128 v86, v[76:79] offset:25600
	ds_store_b128 v86, v[68:71] offset:48640
	ds_store_b128 v86, v[0:3] offset:2560
	ds_store_b128 v86, v[8:11] offset:5120
	ds_store_b128 v86, v[16:19] offset:7680
	ds_store_b128 v86, v[24:27] offset:10240
	ds_store_b128 v86, v[32:35] offset:12800
	ds_store_b128 v86, v[40:43] offset:15360
	ds_store_b128 v86, v[48:51] offset:17920
	ds_store_b128 v86, v[56:59] offset:20480
	ds_store_b128 v86, v[64:67] offset:23040
	ds_store_b128 v86, v[72:75]
	s_waitcnt lgkmcnt(0)
	s_barrier
	buffer_gl0_inv
	s_clause 0x5
	scratch_load_b128 v[6:9], off, off offset:112
	scratch_load_b128 v[14:17], off, off offset:128
	;; [unrolled: 1-line block ×6, first 2 shown]
	ds_load_b128 v[0:3], v86
	s_clause 0xd
	scratch_load_b128 v[22:25], off, off offset:32
	scratch_load_b128 v[38:41], off, off offset:16
	;; [unrolled: 1-line block ×14, first 2 shown]
	s_waitcnt vmcnt(19) lgkmcnt(0)
	v_mul_f64 v[4:5], v[8:9], v[2:3]
	s_delay_alu instid0(VALU_DEP_1) | instskip(SKIP_1) | instid1(VALU_DEP_1)
	v_fma_f64 v[4:5], v[6:7], v[0:1], v[4:5]
	v_mul_f64 v[0:1], v[8:9], v[0:1]
	v_fma_f64 v[6:7], v[6:7], v[2:3], -v[0:1]
	ds_load_b128 v[0:3], v86 offset:5120
	s_waitcnt vmcnt(17) lgkmcnt(0)
	v_mul_f64 v[8:9], v[12:13], v[2:3]
	s_delay_alu instid0(VALU_DEP_1) | instskip(SKIP_1) | instid1(VALU_DEP_1)
	v_fma_f64 v[8:9], v[10:11], v[0:1], v[8:9]
	v_mul_f64 v[0:1], v[12:13], v[0:1]
	v_fma_f64 v[10:11], v[10:11], v[2:3], -v[0:1]
	ds_load_b128 v[0:3], v86 offset:10240
	s_waitcnt lgkmcnt(0)
	v_mul_f64 v[12:13], v[16:17], v[2:3]
	s_delay_alu instid0(VALU_DEP_1) | instskip(SKIP_1) | instid1(VALU_DEP_1)
	v_fma_f64 v[12:13], v[14:15], v[0:1], v[12:13]
	v_mul_f64 v[0:1], v[16:17], v[0:1]
	v_fma_f64 v[14:15], v[14:15], v[2:3], -v[0:1]
	ds_load_b128 v[0:3], v86 offset:15360
	s_waitcnt vmcnt(15) lgkmcnt(0)
	v_mul_f64 v[16:17], v[20:21], v[2:3]
	s_delay_alu instid0(VALU_DEP_1) | instskip(SKIP_1) | instid1(VALU_DEP_1)
	v_fma_f64 v[16:17], v[18:19], v[0:1], v[16:17]
	v_mul_f64 v[0:1], v[20:21], v[0:1]
	v_fma_f64 v[18:19], v[18:19], v[2:3], -v[0:1]
	ds_load_b128 v[0:3], v86 offset:20480
	s_waitcnt vmcnt(13) lgkmcnt(0)
	;; [unrolled: 7-line block ×5, first 2 shown]
	v_mul_f64 v[32:33], v[36:37], v[2:3]
	s_delay_alu instid0(VALU_DEP_1) | instskip(SKIP_1) | instid1(VALU_DEP_1)
	v_fma_f64 v[32:33], v[34:35], v[0:1], v[32:33]
	v_mul_f64 v[0:1], v[36:37], v[0:1]
	v_fma_f64 v[34:35], v[34:35], v[2:3], -v[0:1]
	ds_load_b128 v[0:3], v86 offset:40960
	s_waitcnt lgkmcnt(0)
	v_mul_f64 v[36:37], v[40:41], v[2:3]
	s_delay_alu instid0(VALU_DEP_1) | instskip(SKIP_1) | instid1(VALU_DEP_1)
	v_fma_f64 v[36:37], v[38:39], v[0:1], v[36:37]
	v_mul_f64 v[0:1], v[40:41], v[0:1]
	v_fma_f64 v[38:39], v[38:39], v[2:3], -v[0:1]
	ds_load_b128 v[0:3], v86 offset:46080
	s_waitcnt vmcnt(8) lgkmcnt(0)
	v_mul_f64 v[40:41], v[44:45], v[2:3]
	s_delay_alu instid0(VALU_DEP_1) | instskip(SKIP_1) | instid1(VALU_DEP_1)
	v_fma_f64 v[40:41], v[42:43], v[0:1], v[40:41]
	v_mul_f64 v[0:1], v[44:45], v[0:1]
	v_fma_f64 v[42:43], v[42:43], v[2:3], -v[0:1]
	ds_load_b128 v[0:3], v86 offset:2560
	s_waitcnt lgkmcnt(0)
	v_mul_f64 v[44:45], v[48:49], v[2:3]
	s_delay_alu instid0(VALU_DEP_1) | instskip(SKIP_1) | instid1(VALU_DEP_1)
	v_fma_f64 v[44:45], v[46:47], v[0:1], v[44:45]
	v_mul_f64 v[0:1], v[48:49], v[0:1]
	v_fma_f64 v[46:47], v[46:47], v[2:3], -v[0:1]
	ds_load_b128 v[0:3], v86 offset:7680
	s_waitcnt lgkmcnt(0)
	v_mul_f64 v[48:49], v[52:53], v[2:3]
	s_delay_alu instid0(VALU_DEP_1) | instskip(SKIP_1) | instid1(VALU_DEP_1)
	v_fma_f64 v[48:49], v[50:51], v[0:1], v[48:49]
	v_mul_f64 v[0:1], v[52:53], v[0:1]
	v_fma_f64 v[50:51], v[50:51], v[2:3], -v[0:1]
	ds_load_b128 v[0:3], v86 offset:12800
	s_waitcnt vmcnt(7) lgkmcnt(0)
	v_mul_f64 v[52:53], v[56:57], v[2:3]
	s_delay_alu instid0(VALU_DEP_1) | instskip(SKIP_1) | instid1(VALU_DEP_1)
	v_fma_f64 v[52:53], v[54:55], v[0:1], v[52:53]
	v_mul_f64 v[0:1], v[56:57], v[0:1]
	v_fma_f64 v[54:55], v[54:55], v[2:3], -v[0:1]
	ds_load_b128 v[0:3], v86 offset:17920
	s_waitcnt vmcnt(6) lgkmcnt(0)
	;; [unrolled: 7-line block ×7, first 2 shown]
	v_mul_f64 v[76:77], v[80:81], v[2:3]
	s_delay_alu instid0(VALU_DEP_1) | instskip(SKIP_1) | instid1(VALU_DEP_1)
	v_fma_f64 v[76:77], v[78:79], v[0:1], v[76:77]
	v_mul_f64 v[0:1], v[80:81], v[0:1]
	v_fma_f64 v[78:79], v[78:79], v[2:3], -v[0:1]
	ds_load_b128 v[0:3], v86 offset:48640
	scratch_load_b32 v86, off, off offset:760 ; 4-byte Folded Reload
	s_waitcnt vmcnt(1) lgkmcnt(0)
	v_mul_f64 v[80:81], v[84:85], v[2:3]
	s_delay_alu instid0(VALU_DEP_1) | instskip(SKIP_1) | instid1(VALU_DEP_1)
	v_fma_f64 v[80:81], v[82:83], v[0:1], v[80:81]
	v_mul_f64 v[0:1], v[84:85], v[0:1]
	v_fma_f64 v[82:83], v[82:83], v[2:3], -v[0:1]
	scratch_load_b64 v[0:1], off, off       ; 8-byte Folded Reload
	s_waitcnt vmcnt(0)
	v_mov_b32_e32 v3, v0
	s_delay_alu instid0(VALU_DEP_1) | instskip(SKIP_1) | instid1(VALU_DEP_1)
	v_mad_u64_u32 v[84:85], null, s6, v3, 0
	s_mul_i32 s6, s4, 0x1400
	v_mov_b32_e32 v0, v85
	s_delay_alu instid0(VALU_DEP_1) | instskip(SKIP_1) | instid1(VALU_DEP_2)
	v_mad_u64_u32 v[1:2], null, s7, v3, v[0:1]
	v_mul_f64 v[2:3], v[6:7], s[2:3]
	v_mov_b32_e32 v85, v1
	v_mul_f64 v[0:1], v[4:5], s[2:3]
	v_mad_u64_u32 v[4:5], null, s4, v86, 0
	s_delay_alu instid0(VALU_DEP_1) | instskip(NEXT) | instid1(VALU_DEP_1)
	v_mad_u64_u32 v[6:7], null, s5, v86, v[5:6]
	v_mov_b32_e32 v5, v6
	v_lshlrev_b64 v[6:7], 4, v[84:85]
	s_delay_alu instid0(VALU_DEP_2) | instskip(NEXT) | instid1(VALU_DEP_2)
	v_lshlrev_b64 v[4:5], 4, v[4:5]
	v_add_co_u32 v88, vcc_lo, s0, v6
	s_delay_alu instid0(VALU_DEP_3) | instskip(SKIP_1) | instid1(VALU_DEP_2)
	v_add_co_ci_u32_e32 v89, vcc_lo, s1, v7, vcc_lo
	s_mul_i32 s0, s5, 0x1400
	v_add_co_u32 v4, vcc_lo, v88, v4
	s_delay_alu instid0(VALU_DEP_2) | instskip(SKIP_1) | instid1(SALU_CYCLE_1)
	v_add_co_ci_u32_e32 v5, vcc_lo, v89, v5, vcc_lo
	s_mul_hi_u32 s1, s4, 0x1400
	s_add_i32 s1, s1, s0
	s_mul_i32 s0, s5, 0x2800
	global_store_b128 v[4:5], v[0:3], off
	v_mul_f64 v[2:3], v[10:11], s[2:3]
	scratch_load_b32 v10, off, off offset:12 ; 4-byte Folded Reload
	v_mul_f64 v[0:1], v[8:9], s[2:3]
	v_add_co_u32 v4, vcc_lo, v4, s6
	v_add_co_ci_u32_e32 v5, vcc_lo, s1, v5, vcc_lo
	global_store_b128 v[4:5], v[0:3], off
	v_mul_f64 v[0:1], v[12:13], s[2:3]
	v_mul_f64 v[2:3], v[14:15], s[2:3]
	v_add_co_u32 v4, vcc_lo, v4, s6
	v_add_co_ci_u32_e32 v5, vcc_lo, s1, v5, vcc_lo
	v_mul_f64 v[12:13], v[48:49], s[2:3]
	v_mul_f64 v[14:15], v[50:51], s[2:3]
	global_store_b128 v[4:5], v[0:3], off
	v_mul_f64 v[0:1], v[16:17], s[2:3]
	v_mul_f64 v[2:3], v[18:19], s[2:3]
	v_add_co_u32 v4, vcc_lo, v4, s6
	v_add_co_ci_u32_e32 v5, vcc_lo, s1, v5, vcc_lo
	v_mul_f64 v[16:17], v[52:53], s[2:3]
	v_mul_f64 v[18:19], v[54:55], s[2:3]
	global_store_b128 v[4:5], v[0:3], off
	v_mul_f64 v[0:1], v[20:21], s[2:3]
	v_mul_f64 v[2:3], v[22:23], s[2:3]
	;; [unrolled: 1-line block ×4, first 2 shown]
	s_waitcnt vmcnt(0)
	v_mad_u64_u32 v[6:7], null, s4, v10, 0
	s_delay_alu instid0(VALU_DEP_1)
	v_mad_u64_u32 v[8:9], null, s5, v10, v[7:8]
	scratch_load_b32 v10, off, off offset:8 ; 4-byte Folded Reload
	v_mov_b32_e32 v7, v8
	v_mad_u64_u32 v[8:9], null, 0x2800, s4, v[4:5]
	v_mul_f64 v[4:5], v[32:33], s[2:3]
	v_mul_f64 v[32:33], v[68:69], s[2:3]
	s_delay_alu instid0(VALU_DEP_4) | instskip(NEXT) | instid1(VALU_DEP_4)
	v_lshlrev_b64 v[6:7], 4, v[6:7]
	v_add_nc_u32_e32 v9, s0, v9
	s_delay_alu instid0(VALU_DEP_2) | instskip(NEXT) | instid1(VALU_DEP_3)
	v_add_co_u32 v6, vcc_lo, v88, v6
	v_add_co_ci_u32_e32 v7, vcc_lo, v89, v7, vcc_lo
	global_store_b128 v[6:7], v[0:3], off
	v_mul_f64 v[0:1], v[24:25], s[2:3]
	v_mul_f64 v[2:3], v[26:27], s[2:3]
	;; [unrolled: 1-line block ×6, first 2 shown]
	global_store_b128 v[8:9], v[0:3], off
	v_mul_f64 v[0:1], v[28:29], s[2:3]
	v_mul_f64 v[2:3], v[30:31], s[2:3]
	v_add_co_u32 v8, vcc_lo, v8, s6
	v_add_co_ci_u32_e32 v9, vcc_lo, s1, v9, vcc_lo
	v_mul_f64 v[28:29], v[64:65], s[2:3]
	v_mul_f64 v[30:31], v[66:67], s[2:3]
	global_store_b128 v[8:9], v[0:3], off
	v_add_co_u32 v2, vcc_lo, v8, s6
	v_add_co_ci_u32_e32 v3, vcc_lo, s1, v9, vcc_lo
	v_mul_f64 v[8:9], v[44:45], s[2:3]
	v_mul_f64 v[44:45], v[80:81], s[2:3]
	s_delay_alu instid0(VALU_DEP_3)
	v_mad_u64_u32 v[84:85], null, 0x2800, s4, v[2:3]
	global_store_b128 v[2:3], v[4:7], off
	v_mul_f64 v[6:7], v[42:43], s[2:3]
	v_mul_f64 v[42:43], v[78:79], s[2:3]
	v_add_nc_u32_e32 v85, s0, v85
	s_mul_i32 s0, s5, 0xffff5600
	s_delay_alu instid0(SALU_CYCLE_1) | instskip(NEXT) | instid1(VALU_DEP_1)
	s_sub_i32 s0, s0, s4
	v_mad_u64_u32 v[86:87], null, 0xffff5600, s4, v[84:85]
	s_delay_alu instid0(VALU_DEP_1) | instskip(NEXT) | instid1(VALU_DEP_2)
	v_add_nc_u32_e32 v87, s0, v87
	v_add_co_u32 v90, s0, v86, s6
	s_delay_alu instid0(VALU_DEP_1) | instskip(SKIP_2) | instid1(VALU_DEP_1)
	v_add_co_ci_u32_e64 v91, s0, s1, v87, s0
	s_waitcnt vmcnt(0)
	v_mad_u64_u32 v[0:1], null, s4, v10, 0
	v_mad_u64_u32 v[2:3], null, s5, v10, v[1:2]
	v_mul_f64 v[10:11], v[46:47], s[2:3]
	v_mul_f64 v[46:47], v[82:83], s[2:3]
	s_delay_alu instid0(VALU_DEP_3) | instskip(SKIP_2) | instid1(VALU_DEP_3)
	v_mov_b32_e32 v1, v2
	v_mul_f64 v[2:3], v[38:39], s[2:3]
	v_mul_f64 v[38:39], v[74:75], s[2:3]
	v_lshlrev_b64 v[4:5], 4, v[0:1]
	v_mul_f64 v[0:1], v[36:37], s[2:3]
	v_mul_f64 v[36:37], v[72:73], s[2:3]
	s_delay_alu instid0(VALU_DEP_3) | instskip(NEXT) | instid1(VALU_DEP_4)
	v_add_co_u32 v88, vcc_lo, v88, v4
	v_add_co_ci_u32_e32 v89, vcc_lo, v89, v5, vcc_lo
	v_mul_f64 v[4:5], v[40:41], s[2:3]
	v_add_co_u32 v92, vcc_lo, v90, s6
	v_add_co_ci_u32_e32 v93, vcc_lo, s1, v91, vcc_lo
	v_mul_f64 v[40:41], v[76:77], s[2:3]
	s_delay_alu instid0(VALU_DEP_3) | instskip(NEXT) | instid1(VALU_DEP_3)
	v_add_co_u32 v48, vcc_lo, v92, s6
	v_add_co_ci_u32_e32 v49, vcc_lo, s1, v93, vcc_lo
	global_store_b128 v[88:89], v[0:3], off
	v_add_co_u32 v0, vcc_lo, v48, s6
	v_add_co_ci_u32_e32 v1, vcc_lo, s1, v49, vcc_lo
	s_delay_alu instid0(VALU_DEP_2) | instskip(NEXT) | instid1(VALU_DEP_2)
	v_add_co_u32 v2, vcc_lo, v0, s6
	v_add_co_ci_u32_e32 v3, vcc_lo, s1, v1, vcc_lo
	global_store_b128 v[84:85], v[4:7], off
	v_add_co_u32 v50, vcc_lo, v2, s6
	v_add_co_ci_u32_e32 v51, vcc_lo, s1, v3, vcc_lo
	s_delay_alu instid0(VALU_DEP_2) | instskip(NEXT) | instid1(VALU_DEP_2)
	v_add_co_u32 v4, vcc_lo, v50, s6
	v_add_co_ci_u32_e32 v5, vcc_lo, s1, v51, vcc_lo
	s_delay_alu instid0(VALU_DEP_2) | instskip(NEXT) | instid1(VALU_DEP_2)
	;; [unrolled: 3-line block ×3, first 2 shown]
	v_add_co_u32 v52, vcc_lo, v6, s6
	v_add_co_ci_u32_e32 v53, vcc_lo, s1, v7, vcc_lo
	global_store_b128 v[86:87], v[8:11], off
	global_store_b128 v[90:91], v[12:15], off
	;; [unrolled: 1-line block ×10, first 2 shown]
.LBB0_2:
	s_nop 0
	s_sendmsg sendmsg(MSG_DEALLOC_VGPRS)
	s_endpgm
	.section	.rodata,"a",@progbits
	.p2align	6, 0x0
	.amdhsa_kernel bluestein_single_fwd_len3200_dim1_dp_op_CI_CI
		.amdhsa_group_segment_fixed_size 51200
		.amdhsa_private_segment_fixed_size 780
		.amdhsa_kernarg_size 104
		.amdhsa_user_sgpr_count 15
		.amdhsa_user_sgpr_dispatch_ptr 0
		.amdhsa_user_sgpr_queue_ptr 0
		.amdhsa_user_sgpr_kernarg_segment_ptr 1
		.amdhsa_user_sgpr_dispatch_id 0
		.amdhsa_user_sgpr_private_segment_size 0
		.amdhsa_wavefront_size32 1
		.amdhsa_uses_dynamic_stack 0
		.amdhsa_enable_private_segment 1
		.amdhsa_system_sgpr_workgroup_id_x 1
		.amdhsa_system_sgpr_workgroup_id_y 0
		.amdhsa_system_sgpr_workgroup_id_z 0
		.amdhsa_system_sgpr_workgroup_info 0
		.amdhsa_system_vgpr_workitem_id 0
		.amdhsa_next_free_vgpr 256
		.amdhsa_next_free_sgpr 27
		.amdhsa_reserve_vcc 1
		.amdhsa_float_round_mode_32 0
		.amdhsa_float_round_mode_16_64 0
		.amdhsa_float_denorm_mode_32 3
		.amdhsa_float_denorm_mode_16_64 3
		.amdhsa_dx10_clamp 1
		.amdhsa_ieee_mode 1
		.amdhsa_fp16_overflow 0
		.amdhsa_workgroup_processor_mode 1
		.amdhsa_memory_ordered 1
		.amdhsa_forward_progress 0
		.amdhsa_shared_vgpr_count 0
		.amdhsa_exception_fp_ieee_invalid_op 0
		.amdhsa_exception_fp_denorm_src 0
		.amdhsa_exception_fp_ieee_div_zero 0
		.amdhsa_exception_fp_ieee_overflow 0
		.amdhsa_exception_fp_ieee_underflow 0
		.amdhsa_exception_fp_ieee_inexact 0
		.amdhsa_exception_int_div_zero 0
	.end_amdhsa_kernel
	.text
.Lfunc_end0:
	.size	bluestein_single_fwd_len3200_dim1_dp_op_CI_CI, .Lfunc_end0-bluestein_single_fwd_len3200_dim1_dp_op_CI_CI
                                        ; -- End function
	.section	.AMDGPU.csdata,"",@progbits
; Kernel info:
; codeLenInByte = 30592
; NumSgprs: 29
; NumVgprs: 256
; ScratchSize: 780
; MemoryBound: 0
; FloatMode: 240
; IeeeMode: 1
; LDSByteSize: 51200 bytes/workgroup (compile time only)
; SGPRBlocks: 3
; VGPRBlocks: 31
; NumSGPRsForWavesPerEU: 29
; NumVGPRsForWavesPerEU: 256
; Occupancy: 3
; WaveLimiterHint : 1
; COMPUTE_PGM_RSRC2:SCRATCH_EN: 1
; COMPUTE_PGM_RSRC2:USER_SGPR: 15
; COMPUTE_PGM_RSRC2:TRAP_HANDLER: 0
; COMPUTE_PGM_RSRC2:TGID_X_EN: 1
; COMPUTE_PGM_RSRC2:TGID_Y_EN: 0
; COMPUTE_PGM_RSRC2:TGID_Z_EN: 0
; COMPUTE_PGM_RSRC2:TIDIG_COMP_CNT: 0
	.text
	.p2alignl 7, 3214868480
	.fill 96, 4, 3214868480
	.type	__hip_cuid_185715d4ce82d8b0,@object ; @__hip_cuid_185715d4ce82d8b0
	.section	.bss,"aw",@nobits
	.globl	__hip_cuid_185715d4ce82d8b0
__hip_cuid_185715d4ce82d8b0:
	.byte	0                               ; 0x0
	.size	__hip_cuid_185715d4ce82d8b0, 1

	.ident	"AMD clang version 19.0.0git (https://github.com/RadeonOpenCompute/llvm-project roc-6.4.0 25133 c7fe45cf4b819c5991fe208aaa96edf142730f1d)"
	.section	".note.GNU-stack","",@progbits
	.addrsig
	.addrsig_sym __hip_cuid_185715d4ce82d8b0
	.amdgpu_metadata
---
amdhsa.kernels:
  - .args:
      - .actual_access:  read_only
        .address_space:  global
        .offset:         0
        .size:           8
        .value_kind:     global_buffer
      - .actual_access:  read_only
        .address_space:  global
        .offset:         8
        .size:           8
        .value_kind:     global_buffer
      - .actual_access:  read_only
        .address_space:  global
        .offset:         16
        .size:           8
        .value_kind:     global_buffer
      - .actual_access:  read_only
        .address_space:  global
        .offset:         24
        .size:           8
        .value_kind:     global_buffer
      - .actual_access:  read_only
        .address_space:  global
        .offset:         32
        .size:           8
        .value_kind:     global_buffer
      - .offset:         40
        .size:           8
        .value_kind:     by_value
      - .address_space:  global
        .offset:         48
        .size:           8
        .value_kind:     global_buffer
      - .address_space:  global
        .offset:         56
        .size:           8
        .value_kind:     global_buffer
      - .address_space:  global
        .offset:         64
        .size:           8
        .value_kind:     global_buffer
      - .address_space:  global
        .offset:         72
        .size:           8
        .value_kind:     global_buffer
      - .offset:         80
        .size:           4
        .value_kind:     by_value
      - .address_space:  global
        .offset:         88
        .size:           8
        .value_kind:     global_buffer
      - .address_space:  global
        .offset:         96
        .size:           8
        .value_kind:     global_buffer
    .group_segment_fixed_size: 51200
    .kernarg_segment_align: 8
    .kernarg_segment_size: 104
    .language:       OpenCL C
    .language_version:
      - 2
      - 0
    .max_flat_workgroup_size: 160
    .name:           bluestein_single_fwd_len3200_dim1_dp_op_CI_CI
    .private_segment_fixed_size: 780
    .sgpr_count:     29
    .sgpr_spill_count: 0
    .symbol:         bluestein_single_fwd_len3200_dim1_dp_op_CI_CI.kd
    .uniform_work_group_size: 1
    .uses_dynamic_stack: false
    .vgpr_count:     256
    .vgpr_spill_count: 194
    .wavefront_size: 32
    .workgroup_processor_mode: 1
amdhsa.target:   amdgcn-amd-amdhsa--gfx1100
amdhsa.version:
  - 1
  - 2
...

	.end_amdgpu_metadata
